;; amdgpu-corpus repo=ROCm/rocFFT kind=compiled arch=gfx950 opt=O3
	.text
	.amdgcn_target "amdgcn-amd-amdhsa--gfx950"
	.amdhsa_code_object_version 6
	.protected	bluestein_single_fwd_len686_dim1_dp_op_CI_CI ; -- Begin function bluestein_single_fwd_len686_dim1_dp_op_CI_CI
	.globl	bluestein_single_fwd_len686_dim1_dp_op_CI_CI
	.p2align	8
	.type	bluestein_single_fwd_len686_dim1_dp_op_CI_CI,@function
bluestein_single_fwd_len686_dim1_dp_op_CI_CI: ; @bluestein_single_fwd_len686_dim1_dp_op_CI_CI
; %bb.0:
	s_load_dwordx4 s[16:19], s[0:1], 0x28
	v_mul_u32_u24_e32 v1, 0x53a, v0
	v_add_u32_sdwa v196, s2, v1 dst_sel:DWORD dst_unused:UNUSED_PAD src0_sel:DWORD src1_sel:WORD_1
	v_mov_b32_e32 v197, 0
	s_waitcnt lgkmcnt(0)
	v_cmp_gt_u64_e32 vcc, s[16:17], v[196:197]
	s_and_saveexec_b64 s[2:3], vcc
	s_cbranch_execz .LBB0_2
; %bb.1:
	s_load_dwordx4 s[12:15], s[0:1], 0x18
	s_load_dwordx4 s[8:11], s[0:1], 0x0
	v_mov_b32_e32 v2, s18
	v_mov_b32_e32 v3, s19
	s_movk_i32 s28, 0x1000
	s_waitcnt lgkmcnt(0)
	s_load_dwordx4 s[4:7], s[14:15], 0x0
	s_movk_i32 s29, 0x2000
	s_load_dwordx4 s[12:15], s[12:13], 0x0
	s_mov_b32 s26, 0xaaaaaaaa
	s_mov_b32 s27, 0xbff2aaaa
	s_waitcnt lgkmcnt(0)
	v_mad_u64_u32 v[198:199], s[2:3], s6, v196, 0
	v_mad_u64_u32 v[4:5], s[2:3], s14, v196, 0
	v_mov_b32_e32 v6, v199
	v_mad_u64_u32 v[202:203], s[2:3], s7, v196, v[6:7]
	v_mov_b32_e32 v6, v5
	v_mad_u64_u32 v[6:7], s[2:3], s15, v196, v[6:7]
	v_mov_b32_e32 v5, v6
	v_mov_b32_e32 v6, 49
	v_mul_lo_u16_sdwa v1, v1, v6 dst_sel:DWORD dst_unused:UNUSED_PAD src0_sel:WORD_1 src1_sel:DWORD
	v_sub_u16_e32 v200, v0, v1
	v_mad_u64_u32 v[0:1], s[2:3], s12, v200, 0
	v_mov_b32_e32 v6, v1
	v_mad_u64_u32 v[6:7], s[2:3], s13, v200, v[6:7]
	v_mov_b32_e32 v1, v6
	v_lshl_add_u64 v[2:3], v[4:5], 4, v[2:3]
	v_lshlrev_b32_e32 v196, 4, v200
	v_lshl_add_u64 v[0:1], v[0:1], 4, v[2:3]
	v_lshl_add_u64 v[204:205], s[8:9], 0, v[196:197]
	v_mov_b32_e32 v197, 0x620
	global_load_dwordx4 v[56:59], v[0:1], off
	v_mad_u64_u32 v[0:1], s[2:3], s12, v197, v[0:1]
	global_load_dwordx4 v[28:31], v196, s[8:9]
	s_mul_i32 s2, s13, 0x620
	v_add_u32_e32 v1, s2, v1
	global_load_dwordx4 v[60:63], v[0:1], off
	global_load_dwordx4 v[36:39], v196, s[8:9] offset:1568
	v_mad_u64_u32 v[0:1], s[6:7], s12, v197, v[0:1]
	v_add_u32_e32 v1, s2, v1
	global_load_dwordx4 v[64:67], v[0:1], off
	global_load_dwordx4 v[32:35], v196, s[8:9] offset:3136
	v_mad_u64_u32 v[2:3], s[6:7], s12, v197, v[0:1]
	v_add_co_u32_e32 v0, vcc, s28, v204
	v_add_u32_e32 v3, s2, v3
	s_nop 0
	v_addc_co_u32_e32 v1, vcc, 0, v205, vcc
	global_load_dwordx4 v[68:71], v[2:3], off
	global_load_dwordx4 v[44:47], v[0:1], off offset:608
	v_mad_u64_u32 v[2:3], s[6:7], s12, v197, v[2:3]
	v_add_u32_e32 v3, s2, v3
	global_load_dwordx4 v[72:75], v[2:3], off
	global_load_dwordx4 v[48:51], v[0:1], off offset:2176
	v_mad_u64_u32 v[2:3], s[6:7], s12, v197, v[2:3]
	v_add_u32_e32 v3, s2, v3
	global_load_dwordx4 v[76:79], v[2:3], off
	global_load_dwordx4 v[40:43], v[0:1], off offset:3744
	v_mad_u64_u32 v[2:3], s[6:7], s12, v197, v[2:3]
	v_add_co_u32_e32 v160, vcc, s29, v204
	v_add_u32_e32 v3, s2, v3
	s_nop 0
	v_addc_co_u32_e32 v161, vcc, 0, v205, vcc
	v_mov_b32_e32 v203, 0xffffde50
	s_mul_i32 s3, s13, 0xffffde50
	global_load_dwordx4 v[80:83], v[2:3], off
	global_load_dwordx4 v[52:55], v[160:161], off offset:1216
	v_mad_u64_u32 v[2:3], s[6:7], s12, v203, v[2:3]
	s_sub_i32 s3, s3, s12
	v_add_u32_e32 v3, s3, v3
	global_load_dwordx4 v[84:87], v[2:3], off
	global_load_dwordx4 v[24:27], v196, s[8:9] offset:784
	v_mad_u64_u32 v[2:3], s[6:7], s12, v197, v[2:3]
	v_add_u32_e32 v3, s2, v3
	global_load_dwordx4 v[88:91], v[2:3], off
	global_load_dwordx4 v[16:19], v196, s[8:9] offset:2352
	v_mad_u64_u32 v[2:3], s[6:7], s12, v197, v[2:3]
	;; [unrolled: 4-line block ×3, first 2 shown]
	v_add_u32_e32 v3, s2, v3
	global_load_dwordx4 v[96:99], v[2:3], off
	global_load_dwordx4 v[12:15], v[0:1], off offset:1392
	v_mad_u64_u32 v[2:3], s[6:7], s12, v197, v[2:3]
	v_add_u32_e32 v3, s2, v3
	global_load_dwordx4 v[100:103], v[2:3], off
	global_load_dwordx4 v[8:11], v[0:1], off offset:2960
	v_mad_u64_u32 v[0:1], s[6:7], s12, v197, v[2:3]
	;; [unrolled: 4-line block ×3, first 2 shown]
	v_add_u32_e32 v113, s2, v113
	global_load_dwordx4 v[108:111], v[112:113], off
	global_load_dwordx4 v[0:3], v[160:161], off offset:2000
	s_mov_b32 s14, 0x37e14327
	s_mov_b32 s12, 0x36b3c0b5
	;; [unrolled: 1-line block ×15, first 2 shown]
	s_waitcnt vmcnt(26)
	v_mul_f64 v[112:113], v[58:59], v[30:31]
	v_fmac_f64_e32 v[112:113], v[56:57], v[28:29]
	v_mul_f64 v[56:57], v[56:57], v[30:31]
	v_fma_f64 v[114:115], v[58:59], v[28:29], -v[56:57]
	s_waitcnt vmcnt(24)
	v_mul_f64 v[56:57], v[62:63], v[38:39]
	v_mul_f64 v[58:59], v[60:61], v[38:39]
	v_fmac_f64_e32 v[56:57], v[60:61], v[36:37]
	v_fma_f64 v[58:59], v[62:63], v[36:37], -v[58:59]
	ds_write_b128 v196, v[56:59] offset:1568
	s_waitcnt vmcnt(22)
	v_mul_f64 v[56:57], v[66:67], v[34:35]
	v_mul_f64 v[58:59], v[64:65], v[34:35]
	v_fmac_f64_e32 v[56:57], v[64:65], v[32:33]
	v_fma_f64 v[58:59], v[66:67], v[32:33], -v[58:59]
	ds_write_b128 v196, v[56:59] offset:3136
	ds_write_b128 v196, v[112:115]
	s_mov_b32 s19, 0x3febfeb5
	s_waitcnt vmcnt(20)
	v_mul_f64 v[56:57], v[70:71], v[46:47]
	v_mul_f64 v[58:59], v[68:69], v[46:47]
	v_fmac_f64_e32 v[56:57], v[68:69], v[44:45]
	v_fma_f64 v[58:59], v[70:71], v[44:45], -v[58:59]
	ds_write_b128 v196, v[56:59] offset:4704
	s_waitcnt vmcnt(18)
	v_mul_f64 v[56:57], v[74:75], v[50:51]
	v_mul_f64 v[58:59], v[72:73], v[50:51]
	v_fmac_f64_e32 v[56:57], v[72:73], v[48:49]
	v_fma_f64 v[58:59], v[74:75], v[48:49], -v[58:59]
	ds_write_b128 v196, v[56:59] offset:6272
	;; [unrolled: 6-line block ×3, first 2 shown]
	s_mov_b32 s18, s8
	s_mov_b32 s25, 0xbfd5d0dc
	s_mov_b32 s24, s16
	v_mov_b32_e32 v201, s2
	s_waitcnt vmcnt(14)
	v_mul_f64 v[56:57], v[82:83], v[54:55]
	v_mul_f64 v[58:59], v[80:81], v[54:55]
	v_fmac_f64_e32 v[56:57], v[80:81], v[52:53]
	v_fma_f64 v[58:59], v[82:83], v[52:53], -v[58:59]
	ds_write_b128 v196, v[56:59] offset:9408
	s_waitcnt vmcnt(12)
	v_mul_f64 v[56:57], v[86:87], v[26:27]
	v_mul_f64 v[58:59], v[84:85], v[26:27]
	v_fmac_f64_e32 v[56:57], v[84:85], v[24:25]
	v_fma_f64 v[58:59], v[86:87], v[24:25], -v[58:59]
	ds_write_b128 v196, v[56:59] offset:784
	s_waitcnt vmcnt(10)
	v_mul_f64 v[56:57], v[90:91], v[18:19]
	v_mul_f64 v[58:59], v[88:89], v[18:19]
	v_fmac_f64_e32 v[56:57], v[88:89], v[16:17]
	v_fma_f64 v[58:59], v[90:91], v[16:17], -v[58:59]
	ds_write_b128 v196, v[56:59] offset:2352
	s_waitcnt vmcnt(8)
	v_mul_f64 v[56:57], v[94:95], v[22:23]
	v_mul_f64 v[58:59], v[92:93], v[22:23]
	v_fmac_f64_e32 v[56:57], v[92:93], v[20:21]
	v_fma_f64 v[58:59], v[94:95], v[20:21], -v[58:59]
	ds_write_b128 v196, v[56:59] offset:3920
	s_waitcnt vmcnt(6)
	v_mul_f64 v[56:57], v[98:99], v[14:15]
	v_mul_f64 v[58:59], v[96:97], v[14:15]
	v_fmac_f64_e32 v[56:57], v[96:97], v[12:13]
	v_fma_f64 v[58:59], v[98:99], v[12:13], -v[58:59]
	ds_write_b128 v196, v[56:59] offset:5488
	s_waitcnt vmcnt(4)
	v_mul_f64 v[56:57], v[102:103], v[10:11]
	v_mul_f64 v[58:59], v[100:101], v[10:11]
	v_fmac_f64_e32 v[56:57], v[100:101], v[8:9]
	v_fma_f64 v[58:59], v[102:103], v[8:9], -v[58:59]
	ds_write_b128 v196, v[56:59] offset:7056
	s_waitcnt vmcnt(2)
	v_mul_f64 v[56:57], v[106:107], v[6:7]
	v_mul_f64 v[58:59], v[104:105], v[6:7]
	v_fmac_f64_e32 v[56:57], v[104:105], v[4:5]
	v_fma_f64 v[58:59], v[106:107], v[4:5], -v[58:59]
	ds_write_b128 v196, v[56:59] offset:8624
	s_waitcnt vmcnt(0)
	v_mul_f64 v[56:57], v[110:111], v[2:3]
	v_mul_f64 v[58:59], v[108:109], v[2:3]
	v_fmac_f64_e32 v[56:57], v[108:109], v[0:1]
	v_fma_f64 v[58:59], v[110:111], v[0:1], -v[58:59]
	ds_write_b128 v196, v[56:59] offset:10192
	s_waitcnt lgkmcnt(0)
	; wave barrier
	s_waitcnt lgkmcnt(0)
	ds_read_b128 v[56:59], v196
	ds_read_b128 v[60:63], v196 offset:1568
	ds_read_b128 v[64:67], v196 offset:3136
	;; [unrolled: 1-line block ×13, first 2 shown]
	s_waitcnt lgkmcnt(7)
	v_add_f64 v[112:113], v[60:61], v[80:81]
	v_add_f64 v[60:61], v[60:61], -v[80:81]
	v_add_f64 v[80:81], v[64:65], v[76:77]
	v_add_f64 v[114:115], v[62:63], v[82:83]
	v_add_f64 v[62:63], v[62:63], -v[82:83]
	v_add_f64 v[82:83], v[66:67], v[78:79]
	v_add_f64 v[64:65], v[64:65], -v[76:77]
	;; [unrolled: 2-line block ×5, first 2 shown]
	v_add_f64 v[74:75], v[82:83], v[114:115]
	v_add_f64 v[72:73], v[76:77], v[72:73]
	;; [unrolled: 1-line block ×4, first 2 shown]
	v_add_f64 v[116:117], v[80:81], -v[112:113]
	v_add_f64 v[118:119], v[82:83], -v[114:115]
	;; [unrolled: 1-line block ×6, first 2 shown]
	v_add_f64 v[120:121], v[68:69], v[64:65]
	v_add_f64 v[122:123], v[70:71], v[66:67]
	v_add_f64 v[124:125], v[68:69], -v[64:65]
	v_add_f64 v[126:127], v[70:71], -v[66:67]
	;; [unrolled: 1-line block ×3, first 2 shown]
	v_add_f64 v[58:59], v[58:59], v[74:75]
	v_mov_b64_e32 v[130:131], v[56:57]
	v_add_f64 v[68:69], v[60:61], -v[68:69]
	v_add_f64 v[70:71], v[62:63], -v[70:71]
	v_add_f64 v[64:65], v[64:65], -v[60:61]
	v_add_f64 v[60:61], v[120:121], v[60:61]
	v_add_f64 v[62:63], v[122:123], v[62:63]
	v_mul_f64 v[76:77], v[112:113], s[14:15]
	v_mul_f64 v[78:79], v[114:115], s[14:15]
	;; [unrolled: 1-line block ×7, first 2 shown]
	v_fmac_f64_e32 v[130:131], s[26:27], v[72:73]
	v_mov_b64_e32 v[72:73], v[58:59]
	v_mul_f64 v[124:125], v[64:65], s[8:9]
	v_fmac_f64_e32 v[72:73], s[26:27], v[74:75]
	v_fma_f64 v[74:75], v[116:117], s[20:21], -v[112:113]
	v_fma_f64 v[112:113], v[118:119], s[20:21], -v[114:115]
	;; [unrolled: 1-line block ×4, first 2 shown]
	v_fmac_f64_e32 v[126:127], s[24:25], v[70:71]
	s_mov_b32 s3, 0x3fdc38aa
	s_mov_b32 s2, 0x37c3f68c
	v_fmac_f64_e32 v[76:77], s[12:13], v[80:81]
	v_fma_f64 v[80:81], v[118:119], s[22:23], -v[78:79]
	v_fma_f64 v[66:67], v[66:67], s[18:19], -v[122:123]
	v_fmac_f64_e32 v[122:123], s[16:17], v[70:71]
	v_fmac_f64_e32 v[124:125], s[24:25], v[68:69]
	v_add_f64 v[70:71], v[112:113], v[72:73]
	v_add_f64 v[112:113], v[114:115], v[130:131]
	v_fmac_f64_e32 v[64:65], s[2:3], v[60:61]
	v_fmac_f64_e32 v[126:127], s[2:3], v[62:63]
	;; [unrolled: 1-line block ×4, first 2 shown]
	v_add_f64 v[116:117], v[76:77], v[130:131]
	v_add_f64 v[68:69], v[74:75], v[130:131]
	v_add_f64 v[114:115], v[80:81], v[72:73]
	v_fmac_f64_e32 v[66:67], s[2:3], v[62:63]
	v_fmac_f64_e32 v[124:125], s[2:3], v[60:61]
	v_add_f64 v[76:77], v[112:113], v[126:127]
	v_add_f64 v[74:75], v[64:65], v[70:71]
	v_add_f64 v[70:71], v[70:71], -v[64:65]
	v_add_f64 v[64:65], v[112:113], -v[126:127]
	s_waitcnt lgkmcnt(0)
	v_add_f64 v[112:113], v[88:89], v[108:109]
	v_add_f64 v[88:89], v[88:89], -v[108:109]
	v_add_f64 v[108:109], v[92:93], v[104:105]
	v_add_f64 v[118:119], v[78:79], v[72:73]
	v_add_f64 v[78:79], v[114:115], -v[124:125]
	v_add_f64 v[72:73], v[68:69], -v[66:67]
	v_add_f64 v[68:69], v[68:69], v[66:67]
	v_add_f64 v[66:67], v[124:125], v[114:115]
	;; [unrolled: 1-line block ×3, first 2 shown]
	v_add_f64 v[90:91], v[90:91], -v[110:111]
	v_add_f64 v[110:111], v[94:95], v[106:107]
	v_add_f64 v[92:93], v[92:93], -v[104:105]
	v_add_f64 v[104:105], v[96:97], v[100:101]
	;; [unrolled: 2-line block ×5, first 2 shown]
	v_add_f64 v[100:101], v[104:105], v[100:101]
	v_fmac_f64_e32 v[120:121], s[2:3], v[60:61]
	v_fmac_f64_e32 v[122:123], s[2:3], v[62:63]
	v_add_f64 v[102:103], v[106:107], v[102:103]
	v_add_f64 v[84:85], v[84:85], v[100:101]
	;; [unrolled: 1-line block ×3, first 2 shown]
	v_add_f64 v[82:83], v[118:119], -v[120:121]
	v_add_f64 v[60:61], v[116:117], -v[122:123]
	v_add_f64 v[62:63], v[120:121], v[118:119]
	v_add_f64 v[116:117], v[108:109], -v[112:113]
	v_add_f64 v[118:119], v[110:111], -v[114:115]
	;; [unrolled: 1-line block ×6, first 2 shown]
	v_add_f64 v[86:87], v[86:87], v[102:103]
	v_mov_b64_e32 v[130:131], v[84:85]
	v_mul_f64 v[104:105], v[112:113], s[14:15]
	v_mul_f64 v[106:107], v[114:115], s[14:15]
	;; [unrolled: 1-line block ×4, first 2 shown]
	v_fmac_f64_e32 v[130:131], s[26:27], v[100:101]
	v_mov_b64_e32 v[100:101], v[86:87]
	v_fmac_f64_e32 v[100:101], s[26:27], v[102:103]
	v_fma_f64 v[102:103], v[116:117], s[20:21], -v[112:113]
	v_fma_f64 v[112:113], v[118:119], s[20:21], -v[114:115]
	;; [unrolled: 1-line block ×3, first 2 shown]
	v_fmac_f64_e32 v[104:105], s[12:13], v[108:109]
	v_fma_f64 v[108:109], v[118:119], s[22:23], -v[106:107]
	v_add_f64 v[118:119], v[104:105], v[130:131]
	v_add_f64 v[104:105], v[112:113], v[100:101]
	v_mul_lo_u16_e32 v112, 7, v200
	v_lshl_add_u64 v[128:129], v[200:201], 0, 49
	v_lshlrev_b32_e32 v201, 4, v112
	s_waitcnt lgkmcnt(0)
	; wave barrier
	ds_write_b128 v201, v[56:59]
	ds_write_b128 v201, v[80:83] offset:16
	ds_write_b128 v201, v[76:79] offset:32
	;; [unrolled: 1-line block ×6, first 2 shown]
	v_mul_u32_u24_e32 v56, 7, v128
	v_lshlrev_b32_e32 v199, 4, v56
	v_mov_b32_e32 v56, 37
	v_mul_lo_u16_sdwa v57, v200, v56 dst_sel:DWORD dst_unused:UNUSED_PAD src0_sel:BYTE_0 src1_sel:DWORD
	v_sub_u16_sdwa v58, v200, v57 dst_sel:DWORD dst_unused:UNUSED_PAD src0_sel:DWORD src1_sel:BYTE_1
	v_lshrrev_b16_e32 v58, 1, v58
	v_and_b32_e32 v58, 0x7f, v58
	v_add_u16_sdwa v57, v58, v57 dst_sel:DWORD dst_unused:UNUSED_PAD src0_sel:DWORD src1_sel:BYTE_1
	v_lshrrev_b16_e32 v178, 2, v57
	v_add_f64 v[120:121], v[96:97], v[92:93]
	v_add_f64 v[122:123], v[98:99], v[94:95]
	v_add_f64 v[124:125], v[96:97], -v[92:93]
	v_add_f64 v[126:127], v[98:99], -v[94:95]
	v_add_f64 v[92:93], v[92:93], -v[88:89]
	v_add_f64 v[94:95], v[94:95], -v[90:91]
	v_mul_lo_u16_e32 v57, 7, v178
	v_add_f64 v[96:97], v[88:89], -v[96:97]
	v_add_f64 v[98:99], v[90:91], -v[98:99]
	v_add_f64 v[88:89], v[120:121], v[88:89]
	v_add_f64 v[90:91], v[122:123], v[90:91]
	v_mul_f64 v[120:121], v[124:125], s[6:7]
	v_mul_f64 v[122:123], v[126:127], s[6:7]
	;; [unrolled: 1-line block ×4, first 2 shown]
	v_sub_u16_e32 v57, v200, v57
	v_fmac_f64_e32 v[106:107], s[12:13], v[110:111]
	v_fma_f64 v[110:111], v[92:93], s[18:19], -v[120:121]
	v_fma_f64 v[116:117], v[94:95], s[18:19], -v[122:123]
	v_fmac_f64_e32 v[124:125], s[24:25], v[96:97]
	v_fmac_f64_e32 v[126:127], s[24:25], v[98:99]
	v_and_b32_e32 v179, 0xff, v57
	v_fmac_f64_e32 v[120:121], s[16:17], v[96:97]
	v_fmac_f64_e32 v[122:123], s[16:17], v[98:99]
	v_add_f64 v[132:133], v[106:107], v[100:101]
	v_add_f64 v[102:103], v[102:103], v[130:131]
	v_add_f64 v[106:107], v[114:115], v[130:131]
	v_add_f64 v[108:109], v[108:109], v[100:101]
	v_fmac_f64_e32 v[110:111], s[2:3], v[88:89]
	v_fmac_f64_e32 v[116:117], s[2:3], v[90:91]
	;; [unrolled: 1-line block ×4, first 2 shown]
	v_mul_u32_u24_e32 v57, 6, v179
	v_fmac_f64_e32 v[120:121], s[2:3], v[88:89]
	v_fmac_f64_e32 v[122:123], s[2:3], v[90:91]
	v_add_f64 v[92:93], v[106:107], v[126:127]
	v_add_f64 v[96:97], v[102:103], -v[116:117]
	v_add_f64 v[98:99], v[110:111], v[104:105]
	v_add_f64 v[100:101], v[102:103], v[116:117]
	v_add_f64 v[102:103], v[104:105], -v[110:111]
	v_add_f64 v[104:105], v[106:107], -v[126:127]
	v_add_f64 v[106:107], v[124:125], v[108:109]
	v_lshlrev_b32_e32 v57, 4, v57
	v_add_f64 v[88:89], v[118:119], v[122:123]
	v_add_f64 v[90:91], v[132:133], -v[120:121]
	v_add_f64 v[94:95], v[108:109], -v[124:125]
	;; [unrolled: 1-line block ×3, first 2 shown]
	v_add_f64 v[110:111], v[120:121], v[132:133]
	ds_write_b128 v199, v[84:87]
	ds_write_b128 v199, v[88:91] offset:16
	ds_write_b128 v199, v[92:95] offset:32
	;; [unrolled: 1-line block ×6, first 2 shown]
	s_waitcnt lgkmcnt(0)
	; wave barrier
	s_waitcnt lgkmcnt(0)
	global_load_dwordx4 v[116:119], v57, s[10:11]
	global_load_dwordx4 v[112:115], v57, s[10:11] offset:16
	global_load_dwordx4 v[104:107], v57, s[10:11] offset:32
	;; [unrolled: 1-line block ×5, first 2 shown]
	v_mul_lo_u16_sdwa v56, v128, v56 dst_sel:DWORD dst_unused:UNUSED_PAD src0_sel:BYTE_0 src1_sel:DWORD
	v_sub_u16_sdwa v57, v128, v56 dst_sel:DWORD dst_unused:UNUSED_PAD src0_sel:DWORD src1_sel:BYTE_1
	v_lshrrev_b16_e32 v57, 1, v57
	v_and_b32_e32 v57, 0x7f, v57
	v_add_u16_sdwa v56, v57, v56 dst_sel:DWORD dst_unused:UNUSED_PAD src0_sel:DWORD src1_sel:BYTE_1
	v_lshrrev_b16_e32 v180, 2, v56
	v_mul_lo_u16_e32 v56, 7, v180
	v_sub_u16_e32 v56, v128, v56
	v_and_b32_e32 v181, 0xff, v56
	v_mul_u32_u24_e32 v56, 6, v181
	v_lshlrev_b32_e32 v90, 4, v56
	global_load_dwordx4 v[72:75], v90, s[10:11]
	global_load_dwordx4 v[64:67], v90, s[10:11] offset:16
	global_load_dwordx4 v[60:63], v90, s[10:11] offset:32
	;; [unrolled: 1-line block ×3, first 2 shown]
	ds_read_b128 v[68:71], v196 offset:1568
	ds_read_b128 v[82:85], v196 offset:3136
	;; [unrolled: 1-line block ×9, first 2 shown]
	s_movk_i32 s30, 0x60
	s_load_dwordx2 s[0:1], s[0:1], 0x38
	s_waitcnt vmcnt(9) lgkmcnt(0)
	v_mul_f64 v[76:77], v[70:71], v[118:119]
	v_fma_f64 v[76:77], v[68:69], v[116:117], -v[76:77]
	v_mul_f64 v[78:79], v[68:69], v[118:119]
	s_waitcnt vmcnt(8)
	v_mul_f64 v[68:69], v[84:85], v[114:115]
	v_fma_f64 v[80:81], v[82:83], v[112:113], -v[68:69]
	v_mul_f64 v[82:83], v[82:83], v[114:115]
	s_waitcnt vmcnt(7)
	v_mul_f64 v[68:69], v[88:89], v[106:107]
	v_fmac_f64_e32 v[82:83], v[84:85], v[112:113]
	v_fma_f64 v[84:85], v[86:87], v[104:105], -v[68:69]
	s_waitcnt vmcnt(6)
	v_mul_f64 v[68:69], v[102:103], v[98:99]
	v_mul_f64 v[94:95], v[100:101], v[98:99]
	v_fma_f64 v[92:93], v[100:101], v[96:97], -v[68:69]
	v_fmac_f64_e32 v[94:95], v[102:103], v[96:97]
	s_waitcnt vmcnt(4)
	v_mul_f64 v[68:69], v[110:111], v[126:127]
	v_mul_f64 v[102:103], v[108:109], v[126:127]
	v_fma_f64 v[100:101], v[108:109], v[124:125], -v[68:69]
	v_fmac_f64_e32 v[102:103], v[110:111], v[124:125]
	global_load_dwordx4 v[108:111], v90, s[10:11] offset:64
	v_mul_f64 v[68:69], v[132:133], v[122:123]
	v_fma_f64 v[128:129], v[130:131], v[120:121], -v[68:69]
	s_waitcnt vmcnt(4)
	v_mul_f64 v[68:69], v[140:141], v[74:75]
	v_fma_f64 v[136:137], v[138:139], v[72:73], -v[68:69]
	v_mul_f64 v[138:139], v[138:139], v[74:75]
	s_waitcnt vmcnt(3)
	v_mul_f64 v[68:69], v[144:145], v[66:67]
	v_fmac_f64_e32 v[138:139], v[140:141], v[72:73]
	v_fma_f64 v[140:141], v[142:143], v[64:65], -v[68:69]
	v_mul_f64 v[142:143], v[142:143], v[66:67]
	s_waitcnt vmcnt(2)
	v_mul_f64 v[68:69], v[148:149], v[62:63]
	v_fmac_f64_e32 v[78:79], v[70:71], v[116:117]
	v_fmac_f64_e32 v[142:143], v[144:145], v[64:65]
	v_fma_f64 v[144:145], v[146:147], v[60:61], -v[68:69]
	ds_read_b128 v[68:71], v196 offset:7056
	v_mul_f64 v[86:87], v[86:87], v[106:107]
	v_fmac_f64_e32 v[86:87], v[88:89], v[104:105]
	v_mul_f64 v[146:147], v[146:147], v[62:63]
	v_fmac_f64_e32 v[146:147], v[148:149], v[60:61]
	s_waitcnt vmcnt(1) lgkmcnt(0)
	v_mul_f64 v[88:89], v[70:71], v[58:59]
	v_mul_f64 v[150:151], v[68:69], v[58:59]
	v_fma_f64 v[148:149], v[68:69], v[56:57], -v[88:89]
	v_fmac_f64_e32 v[150:151], v[70:71], v[56:57]
	ds_read_b128 v[68:71], v196 offset:8624
	v_mul_f64 v[130:131], v[130:131], v[122:123]
	v_fmac_f64_e32 v[130:131], v[132:133], v[120:121]
	v_add_f64 v[134:135], v[80:81], v[100:101]
	v_add_f64 v[156:157], v[84:85], v[92:93]
	;; [unrolled: 1-line block ×5, first 2 shown]
	v_add_f64 v[130:131], v[78:79], -v[130:131]
	v_add_f64 v[78:79], v[82:83], -v[102:103]
	;; [unrolled: 1-line block ×6, first 2 shown]
	s_waitcnt vmcnt(0) lgkmcnt(0)
	v_mul_f64 v[88:89], v[70:71], v[110:111]
	v_fma_f64 v[152:153], v[68:69], v[108:109], -v[88:89]
	global_load_dwordx4 v[88:91], v90, s[10:11] offset:80
	v_mul_f64 v[154:155], v[68:69], v[110:111]
	v_fmac_f64_e32 v[154:155], v[70:71], v[108:109]
	ds_read_b128 v[68:71], v196 offset:10192
	s_waitcnt vmcnt(0) lgkmcnt(0)
	v_mul_f64 v[132:133], v[70:71], v[90:91]
	v_fma_f64 v[166:167], v[68:69], v[88:89], -v[132:133]
	v_add_f64 v[132:133], v[76:77], v[128:129]
	v_mul_f64 v[168:169], v[68:69], v[90:91]
	v_add_f64 v[68:69], v[134:135], v[132:133]
	v_add_f64 v[158:159], v[156:157], v[68:69]
	;; [unrolled: 1-line block ×3, first 2 shown]
	v_fmac_f64_e32 v[168:169], v[70:71], v[88:89]
	v_add_f64 v[172:173], v[170:171], v[68:69]
	ds_read_b128 v[68:71], v196
	v_add_f64 v[128:129], v[76:77], -v[128:129]
	v_add_f64 v[76:77], v[80:81], -v[100:101]
	;; [unrolled: 1-line block ×4, first 2 shown]
	s_waitcnt lgkmcnt(0)
	v_add_f64 v[68:69], v[68:69], v[158:159]
	v_add_f64 v[70:71], v[70:71], v[172:173]
	v_mov_b64_e32 v[92:93], v[68:69]
	v_mov_b64_e32 v[94:95], v[70:71]
	v_fmac_f64_e32 v[92:93], s[26:27], v[158:159]
	v_fmac_f64_e32 v[94:95], s[26:27], v[172:173]
	v_add_f64 v[158:159], v[170:171], -v[164:165]
	v_add_f64 v[80:81], v[84:85], v[76:77]
	v_add_f64 v[82:83], v[84:85], -v[76:77]
	v_add_f64 v[164:165], v[76:77], -v[128:129]
	v_add_f64 v[76:77], v[86:87], v[78:79]
	v_add_f64 v[172:173], v[86:87], -v[78:79]
	v_add_f64 v[132:133], v[132:133], -v[156:157]
	;; [unrolled: 1-line block ×3, first 2 shown]
	v_add_f64 v[176:177], v[80:81], v[128:129]
	v_add_f64 v[182:183], v[76:77], v[130:131]
	v_mul_f64 v[172:173], v[172:173], s[6:7]
	v_mul_f64 v[76:77], v[134:135], s[12:13]
	;; [unrolled: 1-line block ×3, first 2 shown]
	v_add_f64 v[128:129], v[128:129], -v[84:85]
	v_add_f64 v[130:131], v[130:131], -v[86:87]
	v_mul_f64 v[132:133], v[132:133], s[14:15]
	v_mul_f64 v[156:157], v[156:157], s[14:15]
	;; [unrolled: 1-line block ×4, first 2 shown]
	v_fma_f64 v[76:77], v[100:101], s[20:21], -v[76:77]
	v_fma_f64 v[78:79], v[102:103], s[20:21], -v[78:79]
	;; [unrolled: 1-line block ×3, first 2 shown]
	v_mul_f64 v[86:87], v[164:165], s[8:9]
	v_fma_f64 v[100:101], v[100:101], s[22:23], -v[132:133]
	v_fma_f64 v[102:103], v[102:103], s[22:23], -v[156:157]
	v_fmac_f64_e32 v[84:85], s[24:25], v[130:131]
	v_fmac_f64_e32 v[132:133], s[12:13], v[134:135]
	v_fmac_f64_e32 v[156:157], s[12:13], v[158:159]
	v_fmac_f64_e32 v[172:173], s[16:17], v[130:131]
	v_add_f64 v[76:77], v[76:77], v[92:93]
	v_add_f64 v[78:79], v[78:79], v[94:95]
	v_fma_f64 v[186:187], v[164:165], s[18:19], -v[184:185]
	v_fmac_f64_e32 v[86:87], s[24:25], v[128:129]
	v_add_f64 v[162:163], v[100:101], v[92:93]
	v_add_f64 v[164:165], v[102:103], v[94:95]
	v_fmac_f64_e32 v[84:85], s[2:3], v[182:183]
	v_add_f64 v[92:93], v[132:133], v[92:93]
	v_add_f64 v[94:95], v[156:157], v[94:95]
	;; [unrolled: 3-line block ×3, first 2 shown]
	v_fmac_f64_e32 v[86:87], s[2:3], v[176:177]
	v_add_f64 v[100:101], v[84:85], v[162:163]
	v_add_f64 v[84:85], v[162:163], -v[84:85]
	v_fmac_f64_e32 v[184:185], s[16:17], v[128:129]
	v_add_f64 v[128:129], v[172:173], v[92:93]
	v_add_f64 v[92:93], v[92:93], -v[172:173]
	v_add_f64 v[158:159], v[144:145], v[148:149]
	v_add_f64 v[132:133], v[170:171], v[156:157]
	;; [unrolled: 1-line block ×4, first 2 shown]
	v_add_f64 v[102:103], v[164:165], -v[86:87]
	v_add_f64 v[86:87], v[86:87], v[164:165]
	v_add_f64 v[174:175], v[158:159], v[132:133]
	;; [unrolled: 1-line block ×4, first 2 shown]
	v_fmac_f64_e32 v[186:187], s[2:3], v[176:177]
	v_fmac_f64_e32 v[184:185], s[2:3], v[176:177]
	v_add_f64 v[176:177], v[164:165], v[132:133]
	ds_read_b128 v[132:135], v196 offset:784
	v_add_f64 v[166:167], v[136:137], -v[166:167]
	v_add_f64 v[136:137], v[140:141], -v[152:153]
	;; [unrolled: 1-line block ×3, first 2 shown]
	v_fmac_f64_e32 v[188:189], s[2:3], v[182:183]
	s_waitcnt lgkmcnt(0)
	v_add_f64 v[132:133], v[132:133], v[174:175]
	v_mov_b64_e32 v[152:153], v[132:133]
	v_add_f64 v[168:169], v[138:139], -v[168:169]
	v_add_f64 v[138:139], v[142:143], -v[154:155]
	v_fmac_f64_e32 v[152:153], s[26:27], v[174:175]
	v_add_f64 v[140:141], v[144:145], v[136:137]
	v_add_f64 v[142:143], v[144:145], -v[136:137]
	v_add_f64 v[174:175], v[136:137], -v[166:167]
	;; [unrolled: 1-line block ×3, first 2 shown]
	v_add_f64 v[76:77], v[188:189], v[76:77]
	v_add_f64 v[130:131], v[94:95], -v[184:185]
	v_add_f64 v[94:95], v[184:185], v[94:95]
	v_add_f64 v[134:135], v[134:135], v[176:177]
	v_add_f64 v[146:147], v[150:151], -v[146:147]
	v_add_f64 v[148:149], v[170:171], -v[156:157]
	;; [unrolled: 1-line block ×4, first 2 shown]
	v_add_f64 v[184:185], v[140:141], v[166:167]
	v_mul_f64 v[188:189], v[142:143], s[6:7]
	v_add_f64 v[156:157], v[156:157], -v[158:159]
	v_add_f64 v[158:159], v[162:163], -v[164:165]
	;; [unrolled: 1-line block ×3, first 2 shown]
	v_mul_f64 v[166:167], v[174:175], s[8:9]
	v_mov_b64_e32 v[154:155], v[134:135]
	v_fma_f64 v[190:191], v[174:175], s[18:19], -v[188:189]
	v_fmac_f64_e32 v[166:167], s[24:25], v[162:163]
	v_fmac_f64_e32 v[188:189], s[16:17], v[162:163]
	v_mul_u32_u24_e32 v162, 49, v178
	v_fmac_f64_e32 v[154:155], s[26:27], v[176:177]
	v_add_f64 v[172:173], v[164:165], -v[172:173]
	v_add_f64 v[136:137], v[146:147], v[138:139]
	v_add_f64 v[176:177], v[146:147], -v[138:139]
	v_add_f64 v[182:183], v[138:139], -v[168:169]
	v_add_lshl_u32 v221, v162, v179, 4
	v_add_f64 v[82:83], v[186:187], v[78:79]
	v_add_f64 v[78:79], v[78:79], -v[186:187]
	v_add_f64 v[186:187], v[136:137], v[168:169]
	v_mul_f64 v[176:177], v[176:177], s[6:7]
	v_mul_f64 v[136:137], v[170:171], s[12:13]
	;; [unrolled: 1-line block ×3, first 2 shown]
	v_add_f64 v[164:165], v[168:169], -v[146:147]
	v_mul_f64 v[156:157], v[156:157], s[14:15]
	v_mul_f64 v[158:159], v[158:159], s[14:15]
	;; [unrolled: 1-line block ×3, first 2 shown]
	s_waitcnt lgkmcnt(0)
	; wave barrier
	ds_write_b128 v221, v[68:71]
	ds_write_b128 v221, v[128:131] offset:112
	ds_write_b128 v221, v[100:103] offset:224
	ds_write_b128 v221, v[80:83] offset:336
	ds_write_b128 v221, v[76:79] offset:448
	ds_write_b128 v221, v[84:87] offset:560
	ds_write_b128 v221, v[92:95] offset:672
	v_mul_u32_u24_e32 v68, 49, v180
	v_fma_f64 v[136:137], v[148:149], s[20:21], -v[136:137]
	v_fma_f64 v[138:139], v[150:151], s[20:21], -v[138:139]
	;; [unrolled: 1-line block ×5, first 2 shown]
	v_fmac_f64_e32 v[168:169], s[24:25], v[164:165]
	v_fmac_f64_e32 v[156:157], s[12:13], v[170:171]
	;; [unrolled: 1-line block ×4, first 2 shown]
	v_add_lshl_u32 v220, v68, v181, 4
	v_mov_b64_e32 v[68:69], s[10:11]
	v_add_f64 v[140:141], v[136:137], v[152:153]
	v_add_f64 v[142:143], v[138:139], v[154:155]
	v_fmac_f64_e32 v[190:191], s[2:3], v[184:185]
	v_fmac_f64_e32 v[192:193], s[2:3], v[186:187]
	v_add_f64 v[148:149], v[144:145], v[152:153]
	v_add_f64 v[150:151], v[146:147], v[154:155]
	v_fmac_f64_e32 v[166:167], s[2:3], v[184:185]
	v_fmac_f64_e32 v[168:169], s[2:3], v[186:187]
	;; [unrolled: 4-line block ×3, first 2 shown]
	v_mad_u64_u32 v[162:163], s[10:11], v200, s30, v[68:69]
	v_add_f64 v[136:137], v[140:141], -v[192:193]
	v_add_f64 v[138:139], v[190:191], v[142:143]
	v_add_f64 v[140:141], v[192:193], v[140:141]
	v_add_f64 v[142:143], v[142:143], -v[190:191]
	v_add_f64 v[144:145], v[168:169], v[148:149]
	v_add_f64 v[146:147], v[150:151], -v[166:167]
	v_add_f64 v[148:149], v[148:149], -v[168:169]
	v_add_f64 v[150:151], v[166:167], v[150:151]
	v_add_f64 v[152:153], v[176:177], v[156:157]
	v_add_f64 v[154:155], v[158:159], -v[188:189]
	v_add_f64 v[156:157], v[156:157], -v[176:177]
	v_add_f64 v[158:159], v[188:189], v[158:159]
	ds_write_b128 v220, v[132:135]
	ds_write_b128 v220, v[152:155] offset:112
	ds_write_b128 v220, v[144:147] offset:224
	;; [unrolled: 1-line block ×6, first 2 shown]
	s_waitcnt lgkmcnt(0)
	; wave barrier
	s_waitcnt lgkmcnt(0)
	global_load_dwordx4 v[84:87], v[162:163], off offset:672
	global_load_dwordx4 v[80:83], v[162:163], off offset:688
	;; [unrolled: 1-line block ×4, first 2 shown]
	ds_read_b128 v[92:95], v196 offset:1568
	ds_read_b128 v[100:103], v196 offset:3136
	;; [unrolled: 1-line block ×3, first 2 shown]
	s_mov_b64 s[10:11], 0x2ae0
	s_waitcnt vmcnt(3) lgkmcnt(2)
	v_mul_f64 v[132:133], v[94:95], v[86:87]
	v_fma_f64 v[132:133], v[92:93], v[84:85], -v[132:133]
	v_mul_f64 v[134:135], v[92:93], v[86:87]
	s_waitcnt vmcnt(2) lgkmcnt(1)
	v_mul_f64 v[92:93], v[102:103], v[82:83]
	v_fma_f64 v[136:137], v[100:101], v[80:81], -v[92:93]
	s_waitcnt vmcnt(1) lgkmcnt(0)
	v_mul_f64 v[92:93], v[130:131], v[78:79]
	v_fmac_f64_e32 v[134:135], v[94:95], v[84:85]
	v_fma_f64 v[140:141], v[128:129], v[76:77], -v[92:93]
	ds_read_b128 v[92:95], v196 offset:6272
	v_mul_f64 v[138:139], v[100:101], v[82:83]
	v_fmac_f64_e32 v[138:139], v[102:103], v[80:81]
	v_mul_f64 v[142:143], v[128:129], v[78:79]
	v_fmac_f64_e32 v[142:143], v[130:131], v[76:77]
	s_waitcnt vmcnt(0) lgkmcnt(0)
	v_mul_f64 v[100:101], v[94:95], v[70:71]
	v_mul_f64 v[146:147], v[92:93], v[70:71]
	v_fma_f64 v[144:145], v[92:93], v[68:69], -v[100:101]
	v_fmac_f64_e32 v[146:147], v[94:95], v[68:69]
	global_load_dwordx4 v[92:95], v[162:163], off offset:736
	ds_read_b128 v[100:103], v196 offset:7840
	v_add_f64 v[184:185], v[140:141], v[144:145]
	v_add_f64 v[206:207], v[142:143], v[146:147]
	v_add_f64 v[140:141], v[144:145], -v[140:141]
	v_add_f64 v[142:143], v[146:147], -v[142:143]
	s_waitcnt vmcnt(0) lgkmcnt(0)
	v_mul_f64 v[128:129], v[102:103], v[94:95]
	v_mul_f64 v[150:151], v[100:101], v[94:95]
	v_fma_f64 v[148:149], v[100:101], v[92:93], -v[128:129]
	v_fmac_f64_e32 v[150:151], v[102:103], v[92:93]
	global_load_dwordx4 v[100:103], v[162:163], off offset:752
	ds_read_b128 v[128:131], v196 offset:9408
	v_add_f64 v[158:159], v[136:137], v[148:149]
	v_add_f64 v[190:191], v[138:139], v[150:151]
	s_waitcnt vmcnt(0) lgkmcnt(0)
	v_mul_f64 v[152:153], v[130:131], v[102:103]
	v_mul_f64 v[154:155], v[128:129], v[102:103]
	v_fma_f64 v[152:153], v[128:129], v[100:101], -v[152:153]
	v_fmac_f64_e32 v[154:155], v[130:131], v[100:101]
	ds_read_b128 v[128:131], v196 offset:2352
	v_add_f64 v[188:189], v[134:135], v[154:155]
	v_add_f64 v[154:155], v[134:135], -v[154:155]
	v_add_f64 v[134:135], v[138:139], -v[150:151]
	v_add_f64 v[150:151], v[190:191], -v[188:189]
	s_waitcnt lgkmcnt(0)
	v_mul_f64 v[156:157], v[130:131], v[86:87]
	v_mul_f64 v[166:167], v[128:129], v[86:87]
	v_fma_f64 v[164:165], v[128:129], v[84:85], -v[156:157]
	v_fmac_f64_e32 v[166:167], v[130:131], v[84:85]
	ds_read_b128 v[128:131], v196 offset:3920
	v_add_f64 v[210:211], v[134:135], -v[154:155]
	s_waitcnt lgkmcnt(0)
	v_mul_f64 v[156:157], v[130:131], v[82:83]
	v_mul_f64 v[170:171], v[128:129], v[82:83]
	v_fma_f64 v[168:169], v[128:129], v[80:81], -v[156:157]
	v_fmac_f64_e32 v[170:171], v[130:131], v[80:81]
	ds_read_b128 v[128:131], v196 offset:5488
	s_waitcnt lgkmcnt(0)
	v_mul_f64 v[156:157], v[130:131], v[78:79]
	v_mul_f64 v[174:175], v[128:129], v[78:79]
	v_fma_f64 v[172:173], v[128:129], v[76:77], -v[156:157]
	v_fmac_f64_e32 v[174:175], v[130:131], v[76:77]
	ds_read_b128 v[128:131], v196 offset:7056
	;; [unrolled: 6-line block ×4, first 2 shown]
	s_waitcnt lgkmcnt(0)
	v_mul_f64 v[156:157], v[130:131], v[102:103]
	v_fma_f64 v[192:193], v[128:129], v[100:101], -v[156:157]
	v_add_f64 v[156:157], v[132:133], v[152:153]
	v_mul_f64 v[194:195], v[128:129], v[102:103]
	v_add_f64 v[128:129], v[158:159], v[156:157]
	v_add_f64 v[186:187], v[184:185], v[128:129]
	;; [unrolled: 1-line block ×3, first 2 shown]
	v_fmac_f64_e32 v[194:195], v[130:131], v[100:101]
	v_add_f64 v[208:209], v[206:207], v[128:129]
	ds_read_b128 v[128:131], v196
	v_add_f64 v[152:153], v[132:133], -v[152:153]
	v_add_f64 v[132:133], v[136:137], -v[148:149]
	;; [unrolled: 1-line block ×4, first 2 shown]
	s_waitcnt lgkmcnt(0)
	v_add_f64 v[128:129], v[128:129], v[186:187]
	v_add_f64 v[130:131], v[130:131], v[208:209]
	v_mov_b64_e32 v[144:145], v[128:129]
	v_mov_b64_e32 v[146:147], v[130:131]
	v_fmac_f64_e32 v[144:145], s[26:27], v[186:187]
	v_fmac_f64_e32 v[146:147], s[26:27], v[208:209]
	v_add_f64 v[186:187], v[206:207], -v[190:191]
	v_add_f64 v[136:137], v[140:141], v[132:133]
	v_add_f64 v[138:139], v[140:141], -v[132:133]
	v_add_f64 v[190:191], v[132:133], -v[152:153]
	v_add_f64 v[132:133], v[142:143], v[134:135]
	v_add_f64 v[208:209], v[142:143], -v[134:135]
	v_add_f64 v[156:157], v[156:157], -v[184:185]
	;; [unrolled: 1-line block ×3, first 2 shown]
	v_add_f64 v[212:213], v[136:137], v[152:153]
	v_add_f64 v[214:215], v[132:133], v[154:155]
	v_mul_f64 v[208:209], v[208:209], s[6:7]
	v_mul_f64 v[132:133], v[158:159], s[12:13]
	v_mul_f64 v[134:135], v[186:187], s[12:13]
	v_add_f64 v[152:153], v[152:153], -v[140:141]
	v_add_f64 v[154:155], v[154:155], -v[142:143]
	v_mul_f64 v[156:157], v[156:157], s[14:15]
	v_mul_f64 v[184:185], v[184:185], s[14:15]
	v_mul_f64 v[140:141], v[210:211], s[8:9]
	v_mul_f64 v[216:217], v[138:139], s[6:7]
	v_fma_f64 v[132:133], v[148:149], s[20:21], -v[132:133]
	v_fma_f64 v[134:135], v[150:151], s[20:21], -v[134:135]
	;; [unrolled: 1-line block ×3, first 2 shown]
	v_mul_f64 v[142:143], v[190:191], s[8:9]
	v_fma_f64 v[148:149], v[148:149], s[22:23], -v[156:157]
	v_fma_f64 v[150:151], v[150:151], s[22:23], -v[184:185]
	v_fmac_f64_e32 v[140:141], s[24:25], v[154:155]
	v_fmac_f64_e32 v[156:157], s[12:13], v[158:159]
	v_fmac_f64_e32 v[184:185], s[12:13], v[186:187]
	v_fmac_f64_e32 v[208:209], s[16:17], v[154:155]
	v_add_f64 v[132:133], v[132:133], v[144:145]
	v_add_f64 v[134:135], v[134:135], v[146:147]
	v_fma_f64 v[218:219], v[190:191], s[18:19], -v[216:217]
	v_fmac_f64_e32 v[142:143], s[24:25], v[152:153]
	v_add_f64 v[188:189], v[148:149], v[144:145]
	v_add_f64 v[190:191], v[150:151], v[146:147]
	v_fmac_f64_e32 v[140:141], s[2:3], v[214:215]
	v_add_f64 v[144:145], v[156:157], v[144:145]
	v_add_f64 v[146:147], v[184:185], v[146:147]
	;; [unrolled: 3-line block ×3, first 2 shown]
	v_fmac_f64_e32 v[142:143], s[2:3], v[212:213]
	v_add_f64 v[148:149], v[140:141], v[188:189]
	v_add_f64 v[140:141], v[188:189], -v[140:141]
	v_fmac_f64_e32 v[216:217], s[16:17], v[152:153]
	v_add_f64 v[152:153], v[208:209], v[144:145]
	v_add_f64 v[144:145], v[144:145], -v[208:209]
	v_add_f64 v[186:187], v[172:173], v[176:177]
	v_add_f64 v[156:157], v[206:207], v[184:185]
	;; [unrolled: 1-line block ×4, first 2 shown]
	v_add_f64 v[150:151], v[190:191], -v[142:143]
	v_add_f64 v[142:143], v[142:143], v[190:191]
	v_add_f64 v[210:211], v[186:187], v[156:157]
	v_add_f64 v[190:191], v[174:175], v[178:179]
	v_add_f64 v[156:157], v[208:209], v[188:189]
	v_fmac_f64_e32 v[218:219], s[2:3], v[212:213]
	v_fmac_f64_e32 v[216:217], s[2:3], v[212:213]
	v_add_f64 v[212:213], v[190:191], v[156:157]
	ds_read_b128 v[156:159], v196 offset:784
	v_add_f64 v[192:193], v[164:165], -v[192:193]
	v_add_f64 v[194:195], v[166:167], -v[194:195]
	;; [unrolled: 1-line block ×4, first 2 shown]
	s_waitcnt lgkmcnt(0)
	v_add_f64 v[156:157], v[156:157], v[210:211]
	v_add_f64 v[158:159], v[158:159], v[212:213]
	v_add_f64 v[172:173], v[176:177], -v[172:173]
	v_add_f64 v[174:175], v[178:179], -v[174:175]
	v_mov_b64_e32 v[180:181], v[156:157]
	v_mov_b64_e32 v[182:183], v[158:159]
	v_fmac_f64_e32 v[222:223], s[2:3], v[214:215]
	v_fmac_f64_e32 v[180:181], s[26:27], v[210:211]
	;; [unrolled: 1-line block ×3, first 2 shown]
	v_add_f64 v[176:177], v[206:207], -v[184:185]
	v_add_f64 v[206:207], v[186:187], -v[206:207]
	v_add_f64 v[178:179], v[208:209], -v[188:189]
	v_add_f64 v[208:209], v[190:191], -v[208:209]
	v_add_f64 v[168:169], v[172:173], v[164:165]
	v_add_f64 v[170:171], v[172:173], -v[164:165]
	v_add_f64 v[210:211], v[164:165], -v[192:193]
	v_add_f64 v[164:165], v[174:175], v[166:167]
	v_add_f64 v[212:213], v[174:175], -v[166:167]
	v_add_f64 v[214:215], v[166:167], -v[194:195]
	;; [unrolled: 1-line block ×5, first 2 shown]
	v_add_f64 v[138:139], v[218:219], v[134:135]
	v_add_f64 v[132:133], v[222:223], v[132:133]
	v_add_f64 v[134:135], v[134:135], -v[218:219]
	v_add_f64 v[154:155], v[146:147], -v[216:217]
	v_add_f64 v[146:147], v[216:217], v[146:147]
	v_add_f64 v[216:217], v[168:169], v[192:193]
	;; [unrolled: 1-line block ×3, first 2 shown]
	v_mul_f64 v[222:223], v[170:171], s[6:7]
	v_mul_f64 v[212:213], v[212:213], s[6:7]
	;; [unrolled: 1-line block ×4, first 2 shown]
	v_add_f64 v[188:189], v[192:193], -v[172:173]
	v_add_f64 v[190:191], v[194:195], -v[174:175]
	v_mul_f64 v[184:185], v[184:185], s[14:15]
	v_mul_f64 v[186:187], v[186:187], s[14:15]
	;; [unrolled: 1-line block ×4, first 2 shown]
	v_fma_f64 v[164:165], v[176:177], s[20:21], -v[164:165]
	v_fma_f64 v[166:167], v[178:179], s[20:21], -v[166:167]
	;; [unrolled: 1-line block ×6, first 2 shown]
	v_fmac_f64_e32 v[192:193], s[24:25], v[188:189]
	v_fmac_f64_e32 v[194:195], s[24:25], v[190:191]
	;; [unrolled: 1-line block ×6, first 2 shown]
	v_add_f64 v[168:169], v[164:165], v[180:181]
	v_add_f64 v[170:171], v[166:167], v[182:183]
	v_fmac_f64_e32 v[224:225], s[2:3], v[216:217]
	v_fmac_f64_e32 v[226:227], s[2:3], v[218:219]
	v_add_f64 v[176:177], v[172:173], v[180:181]
	v_add_f64 v[178:179], v[174:175], v[182:183]
	v_fmac_f64_e32 v[192:193], s[2:3], v[216:217]
	v_fmac_f64_e32 v[194:195], s[2:3], v[218:219]
	;; [unrolled: 4-line block ×3, first 2 shown]
	v_add_f64 v[164:165], v[168:169], -v[226:227]
	v_add_f64 v[166:167], v[224:225], v[170:171]
	v_add_f64 v[168:169], v[226:227], v[168:169]
	v_add_f64 v[170:171], v[170:171], -v[224:225]
	v_add_f64 v[172:173], v[194:195], v[176:177]
	v_add_f64 v[174:175], v[178:179], -v[192:193]
	v_add_f64 v[176:177], v[176:177], -v[194:195]
	v_add_f64 v[178:179], v[192:193], v[178:179]
	v_add_f64 v[180:181], v[212:213], v[184:185]
	v_add_f64 v[182:183], v[186:187], -v[222:223]
	v_add_f64 v[184:185], v[184:185], -v[212:213]
	v_add_f64 v[186:187], v[222:223], v[186:187]
	s_waitcnt lgkmcnt(0)
	; wave barrier
	ds_write_b128 v196, v[128:131]
	ds_write_b128 v196, v[152:155] offset:784
	ds_write_b128 v196, v[148:151] offset:1568
	;; [unrolled: 1-line block ×13, first 2 shown]
	v_mul_hi_i32_i24_e32 v129, 0xffffffb0, v200
	v_mul_i32_i24_e32 v128, 0xffffffb0, v200
	v_lshl_add_u64 v[148:149], v[162:163], 0, v[128:129]
	v_add_co_u32_e32 v144, vcc, s28, v148
	s_waitcnt lgkmcnt(0)
	s_nop 0
	v_addc_co_u32_e32 v145, vcc, 0, v149, vcc
	; wave barrier
	global_load_dwordx4 v[128:131], v[144:145], off offset:1280
	ds_read_b128 v[132:135], v196 offset:5488
	ds_read_b128 v[222:225], v196 offset:4704
	v_add_co_u32_e32 v156, vcc, s29, v148
	ds_read_b128 v[174:177], v196 offset:1568
	ds_read_b128 v[182:185], v196 offset:2352
	v_addc_co_u32_e32 v157, vcc, 0, v149, vcc
	ds_read_b128 v[190:193], v196 offset:3136
	ds_read_b128 v[210:213], v196 offset:3920
	s_movk_i32 s3, 0x3000
	s_mov_b32 s7, 0x3fe11646
	s_waitcnt vmcnt(0) lgkmcnt(5)
	v_mul_f64 v[136:137], v[134:135], v[130:131]
	v_mul_f64 v[164:165], v[132:133], v[130:131]
	v_fma_f64 v[162:163], v[132:133], v[128:129], -v[136:137]
	v_fmac_f64_e32 v[164:165], v[134:135], v[128:129]
	global_load_dwordx4 v[132:135], v[144:145], off offset:2064
	ds_read_b128 v[136:139], v196 offset:6272
	s_waitcnt vmcnt(0) lgkmcnt(0)
	v_mul_f64 v[140:141], v[138:139], v[134:135]
	v_mul_f64 v[172:173], v[136:137], v[134:135]
	v_fma_f64 v[170:171], v[136:137], v[132:133], -v[140:141]
	v_fmac_f64_e32 v[172:173], v[138:139], v[132:133]
	global_load_dwordx4 v[136:139], v[144:145], off offset:2848
	ds_read_b128 v[140:143], v196 offset:7056
	;; [unrolled: 7-line block ×3, first 2 shown]
	v_add_f64 v[178:179], v[174:175], -v[178:179]
	v_add_f64 v[180:181], v[176:177], -v[180:181]
	v_fma_f64 v[174:175], v[174:175], 2.0, -v[178:179]
	v_fma_f64 v[176:177], v[176:177], 2.0, -v[180:181]
	s_waitcnt vmcnt(0) lgkmcnt(0)
	v_mul_f64 v[150:151], v[146:147], v[142:143]
	v_mul_f64 v[188:189], v[144:145], v[142:143]
	v_fma_f64 v[186:187], v[144:145], v[140:141], -v[150:151]
	v_fmac_f64_e32 v[188:189], v[146:147], v[140:141]
	global_load_dwordx4 v[144:147], v[156:157], off offset:320
	ds_read_b128 v[148:151], v196 offset:8624
	v_add_f64 v[186:187], v[182:183], -v[186:187]
	v_add_f64 v[188:189], v[184:185], -v[188:189]
	v_fma_f64 v[182:183], v[182:183], 2.0, -v[186:187]
	v_fma_f64 v[184:185], v[184:185], 2.0, -v[188:189]
	s_waitcnt vmcnt(0) lgkmcnt(0)
	v_mul_f64 v[152:153], v[150:151], v[146:147]
	v_mul_f64 v[208:209], v[148:149], v[146:147]
	v_fma_f64 v[194:195], v[148:149], v[144:145], -v[152:153]
	v_fmac_f64_e32 v[208:209], v[150:151], v[144:145]
	global_load_dwordx4 v[148:151], v[156:157], off offset:1104
	ds_read_b128 v[152:155], v196 offset:9408
	;; [unrolled: 11-line block ×3, first 2 shown]
	v_add_f64 v[214:215], v[210:211], -v[214:215]
	v_add_f64 v[216:217], v[212:213], -v[216:217]
	v_fma_f64 v[210:211], v[210:211], 2.0, -v[214:215]
	v_fma_f64 v[212:213], v[212:213], 2.0, -v[216:217]
	s_waitcnt vmcnt(0) lgkmcnt(0)
	v_mul_f64 v[166:167], v[158:159], v[154:155]
	v_mul_f64 v[228:229], v[156:157], v[154:155]
	v_fma_f64 v[218:219], v[156:157], v[152:153], -v[166:167]
	v_fmac_f64_e32 v[228:229], v[158:159], v[152:153]
	ds_read_b128 v[156:159], v196
	ds_read_b128 v[166:169], v196 offset:784
	v_add_f64 v[226:227], v[222:223], -v[218:219]
	v_add_f64 v[228:229], v[224:225], -v[228:229]
	v_fma_f64 v[222:223], v[222:223], 2.0, -v[226:227]
	s_waitcnt lgkmcnt(1)
	v_add_f64 v[162:163], v[156:157], -v[162:163]
	v_add_f64 v[164:165], v[158:159], -v[164:165]
	v_fma_f64 v[156:157], v[156:157], 2.0, -v[162:163]
	v_fma_f64 v[158:159], v[158:159], 2.0, -v[164:165]
	s_waitcnt lgkmcnt(0)
	v_add_f64 v[170:171], v[166:167], -v[170:171]
	v_add_f64 v[172:173], v[168:169], -v[172:173]
	v_fma_f64 v[166:167], v[166:167], 2.0, -v[170:171]
	v_fma_f64 v[168:169], v[168:169], 2.0, -v[172:173]
	;; [unrolled: 1-line block ×3, first 2 shown]
	ds_write_b128 v196, v[156:159]
	ds_write_b128 v196, v[162:165] offset:5488
	ds_write_b128 v196, v[166:169] offset:784
	;; [unrolled: 1-line block ×13, first 2 shown]
	s_waitcnt lgkmcnt(0)
	; wave barrier
	s_waitcnt lgkmcnt(0)
	global_load_dwordx4 v[160:163], v[160:161], off offset:2784
	ds_read_b128 v[164:167], v196
	ds_read_b128 v[208:211], v196 offset:784
	v_lshl_add_u64 v[192:193], v[204:205], 0, s[10:11]
	ds_read_b128 v[168:171], v196 offset:1568
	ds_read_b128 v[212:215], v196 offset:2352
	ds_read_b128 v[172:175], v196 offset:3136
	ds_read_b128 v[176:179], v196 offset:4704
	ds_read_b128 v[180:183], v196 offset:6272
	ds_read_b128 v[184:187], v196 offset:7840
	ds_read_b128 v[188:191], v196 offset:9408
	s_waitcnt vmcnt(0) lgkmcnt(8)
	v_mul_f64 v[156:157], v[166:167], v[162:163]
	v_mul_f64 v[158:159], v[164:165], v[162:163]
	v_fma_f64 v[156:157], v[164:165], v[160:161], -v[156:157]
	v_fmac_f64_e32 v[158:159], v[166:167], v[160:161]
	global_load_dwordx4 v[164:167], v[192:193], off offset:1568
	s_waitcnt vmcnt(0) lgkmcnt(6)
	v_mul_f64 v[160:161], v[170:171], v[166:167]
	v_mul_f64 v[162:163], v[168:169], v[166:167]
	v_fma_f64 v[160:161], v[168:169], v[164:165], -v[160:161]
	v_fmac_f64_e32 v[162:163], v[170:171], v[164:165]
	global_load_dwordx4 v[168:171], v[192:193], off offset:3136
	s_waitcnt vmcnt(0) lgkmcnt(4)
	v_mul_f64 v[164:165], v[174:175], v[170:171]
	v_mul_f64 v[166:167], v[172:173], v[170:171]
	v_fma_f64 v[164:165], v[172:173], v[168:169], -v[164:165]
	v_fmac_f64_e32 v[166:167], v[174:175], v[168:169]
	v_add_co_u32_e32 v168, vcc, s3, v204
	s_movk_i32 s3, 0x4000
	s_nop 0
	v_addc_co_u32_e32 v169, vcc, 0, v205, vcc
	global_load_dwordx4 v[172:175], v[168:169], off offset:3392
	v_add_co_u32_e32 v206, vcc, s3, v204
	s_movk_i32 s3, 0x5000
	s_nop 0
	v_addc_co_u32_e32 v207, vcc, 0, v205, vcc
	v_add_co_u32_e32 v204, vcc, s3, v204
	s_mov_b32 s3, 0xbfdc38aa
	s_nop 0
	v_addc_co_u32_e32 v205, vcc, 0, v205, vcc
	s_waitcnt vmcnt(0) lgkmcnt(3)
	v_mul_f64 v[168:169], v[178:179], v[174:175]
	v_mul_f64 v[170:171], v[176:177], v[174:175]
	v_fma_f64 v[168:169], v[176:177], v[172:173], -v[168:169]
	v_fmac_f64_e32 v[170:171], v[178:179], v[172:173]
	global_load_dwordx4 v[176:179], v[206:207], off offset:864
	s_waitcnt vmcnt(0) lgkmcnt(2)
	v_mul_f64 v[172:173], v[182:183], v[178:179]
	v_mul_f64 v[174:175], v[180:181], v[178:179]
	v_fma_f64 v[172:173], v[180:181], v[176:177], -v[172:173]
	v_fmac_f64_e32 v[174:175], v[182:183], v[176:177]
	global_load_dwordx4 v[180:183], v[206:207], off offset:2432
	;; [unrolled: 6-line block ×4, first 2 shown]
	s_waitcnt vmcnt(0)
	v_mul_f64 v[184:185], v[210:211], v[190:191]
	v_mul_f64 v[186:187], v[208:209], v[190:191]
	v_fma_f64 v[184:185], v[208:209], v[188:189], -v[184:185]
	v_fmac_f64_e32 v[186:187], v[210:211], v[188:189]
	global_load_dwordx4 v[208:211], v[192:193], off offset:2352
	s_waitcnt vmcnt(0)
	v_mul_f64 v[188:189], v[214:215], v[210:211]
	v_mul_f64 v[190:191], v[212:213], v[210:211]
	v_fma_f64 v[188:189], v[212:213], v[208:209], -v[188:189]
	v_fmac_f64_e32 v[190:191], v[214:215], v[208:209]
	global_load_dwordx4 v[208:211], v[192:193], off offset:3920
	ds_read_b128 v[212:215], v196 offset:3920
	s_waitcnt vmcnt(0) lgkmcnt(0)
	v_mul_f64 v[192:193], v[214:215], v[210:211]
	v_mul_f64 v[194:195], v[212:213], v[210:211]
	v_fma_f64 v[192:193], v[212:213], v[208:209], -v[192:193]
	v_fmac_f64_e32 v[194:195], v[214:215], v[208:209]
	global_load_dwordx4 v[208:211], v[206:207], off offset:80
	ds_read_b128 v[212:215], v196 offset:5488
	s_waitcnt vmcnt(0) lgkmcnt(0)
	v_mul_f64 v[216:217], v[214:215], v[210:211]
	v_mul_f64 v[218:219], v[212:213], v[210:211]
	v_fma_f64 v[216:217], v[212:213], v[208:209], -v[216:217]
	v_fmac_f64_e32 v[218:219], v[214:215], v[208:209]
	global_load_dwordx4 v[208:211], v[206:207], off offset:1648
	ds_read_b128 v[212:215], v196 offset:7056
	s_waitcnt vmcnt(0) lgkmcnt(0)
	v_mul_f64 v[222:223], v[214:215], v[210:211]
	v_mul_f64 v[224:225], v[212:213], v[210:211]
	v_fma_f64 v[222:223], v[212:213], v[208:209], -v[222:223]
	v_fmac_f64_e32 v[224:225], v[214:215], v[208:209]
	global_load_dwordx4 v[206:209], v[206:207], off offset:3216
	ds_read_b128 v[210:213], v196 offset:8624
	s_waitcnt vmcnt(0) lgkmcnt(0)
	v_mul_f64 v[214:215], v[212:213], v[208:209]
	v_mul_f64 v[228:229], v[210:211], v[208:209]
	v_fma_f64 v[226:227], v[210:211], v[206:207], -v[214:215]
	v_fmac_f64_e32 v[228:229], v[212:213], v[206:207]
	global_load_dwordx4 v[204:207], v[204:205], off offset:688
	ds_read_b128 v[208:211], v196 offset:10192
	s_waitcnt vmcnt(0) lgkmcnt(0)
	v_mul_f64 v[212:213], v[210:211], v[206:207]
	v_mul_f64 v[214:215], v[208:209], v[206:207]
	v_fma_f64 v[212:213], v[208:209], v[204:205], -v[212:213]
	v_fmac_f64_e32 v[214:215], v[210:211], v[204:205]
	ds_write_b128 v196, v[156:159]
	ds_write_b128 v196, v[160:163] offset:1568
	ds_write_b128 v196, v[164:167] offset:3136
	;; [unrolled: 1-line block ×13, first 2 shown]
	s_waitcnt lgkmcnt(0)
	; wave barrier
	s_waitcnt lgkmcnt(0)
	ds_read_b128 v[156:159], v196 offset:1568
	ds_read_b128 v[160:163], v196 offset:9408
	s_waitcnt lgkmcnt(0)
	v_add_f64 v[168:169], v[156:157], v[160:161]
	v_add_f64 v[170:171], v[158:159], v[162:163]
	v_add_f64 v[172:173], v[156:157], -v[160:161]
	v_add_f64 v[174:175], v[158:159], -v[162:163]
	ds_read_b128 v[156:159], v196 offset:3136
	ds_read_b128 v[176:179], v196 offset:7840
	s_waitcnt lgkmcnt(0)
	v_add_f64 v[166:167], v[156:157], v[176:177]
	v_add_f64 v[164:165], v[158:159], v[178:179]
	v_add_f64 v[162:163], v[156:157], -v[176:177]
	v_add_f64 v[160:161], v[158:159], -v[178:179]
	ds_read_b128 v[156:159], v196 offset:4704
	ds_read_b128 v[180:183], v196 offset:6272
	v_add_f64 v[226:227], v[164:165], -v[170:171]
	v_add_f64 v[230:231], v[162:163], -v[172:173]
	;; [unrolled: 1-line block ×3, first 2 shown]
	s_waitcnt lgkmcnt(0)
	v_add_f64 v[176:177], v[156:157], v[180:181]
	v_add_f64 v[178:179], v[158:159], v[182:183]
	v_add_f64 v[180:181], v[180:181], -v[156:157]
	v_add_f64 v[182:183], v[182:183], -v[158:159]
	ds_read_b128 v[156:159], v196 offset:2352
	ds_read_b128 v[184:187], v196 offset:10192
	v_add_f64 v[224:225], v[176:177], -v[166:167]
	v_add_f64 v[228:229], v[178:179], -v[164:165]
	;; [unrolled: 1-line block ×3, first 2 shown]
	v_mul_f64 v[232:233], v[232:233], s[6:7]
	s_waitcnt lgkmcnt(0)
	v_add_f64 v[188:189], v[156:157], v[184:185]
	v_add_f64 v[190:191], v[158:159], v[186:187]
	v_add_f64 v[192:193], v[156:157], -v[184:185]
	v_add_f64 v[194:195], v[158:159], -v[186:187]
	ds_read_b128 v[156:159], v196 offset:3920
	ds_read_b128 v[184:187], v196 offset:8624
	v_fma_f64 v[244:245], v[234:235], s[8:9], -v[232:233]
	s_waitcnt lgkmcnt(0)
	v_add_f64 v[210:211], v[156:157], v[184:185]
	v_add_f64 v[208:209], v[158:159], v[186:187]
	v_add_f64 v[206:207], v[156:157], -v[184:185]
	v_add_f64 v[204:205], v[158:159], -v[186:187]
	ds_read_b128 v[156:159], v196 offset:5488
	ds_read_b128 v[184:187], v196 offset:7056
	s_waitcnt lgkmcnt(0)
	v_add_f64 v[212:213], v[156:157], v[184:185]
	v_add_f64 v[216:217], v[184:185], -v[156:157]
	v_add_f64 v[156:157], v[166:167], v[168:169]
	v_add_f64 v[184:185], v[176:177], v[156:157]
	;; [unrolled: 1-line block ×4, first 2 shown]
	v_add_f64 v[218:219], v[186:187], -v[158:159]
	v_add_f64 v[186:187], v[178:179], v[156:157]
	ds_read_b128 v[156:159], v196
	v_add_f64 v[164:165], v[180:181], v[162:163]
	v_add_f64 v[236:237], v[164:165], v[172:173]
	v_add_f64 v[170:171], v[170:171], -v[178:179]
	v_add_f64 v[172:173], v[172:173], -v[180:181]
	s_waitcnt lgkmcnt(0)
	v_add_f64 v[156:157], v[156:157], v[184:185]
	v_add_f64 v[158:159], v[158:159], v[186:187]
	v_mov_b64_e32 v[222:223], v[156:157]
	v_fmac_f64_e32 v[222:223], s[26:27], v[184:185]
	v_mov_b64_e32 v[184:185], v[158:159]
	v_fmac_f64_e32 v[184:185], s[26:27], v[186:187]
	v_add_f64 v[186:187], v[166:167], -v[168:169]
	v_add_f64 v[166:167], v[180:181], -v[162:163]
	v_add_f64 v[162:163], v[182:183], v[160:161]
	v_add_f64 v[168:169], v[168:169], -v[176:177]
	v_add_f64 v[238:239], v[162:163], v[174:175]
	v_add_f64 v[174:175], v[174:175], -v[182:183]
	v_mul_f64 v[180:181], v[168:169], s[14:15]
	v_mul_f64 v[168:169], v[234:235], s[18:19]
	;; [unrolled: 1-line block ×5, first 2 shown]
	v_fma_f64 v[176:177], v[186:187], s[22:23], -v[180:181]
	v_fmac_f64_e32 v[168:169], s[16:17], v[174:175]
	v_mul_f64 v[240:241], v[166:167], s[6:7]
	v_fma_f64 v[160:161], v[186:187], s[20:21], -v[160:161]
	v_fma_f64 v[162:163], v[226:227], s[20:21], -v[162:163]
	v_mul_f64 v[170:171], v[230:231], s[18:19]
	v_fma_f64 v[178:179], v[226:227], s[22:23], -v[182:183]
	v_add_f64 v[186:187], v[176:177], v[222:223]
	v_fmac_f64_e32 v[168:169], s[2:3], v[238:239]
	v_fmac_f64_e32 v[182:183], s[12:13], v[228:229]
	v_add_f64 v[162:163], v[162:163], v[184:185]
	v_fma_f64 v[242:243], v[230:231], s[8:9], -v[240:241]
	v_fmac_f64_e32 v[170:171], s[16:17], v[172:173]
	v_add_f64 v[226:227], v[178:179], v[184:185]
	v_add_f64 v[176:177], v[186:187], v[168:169]
	v_add_f64 v[168:169], v[186:187], -v[168:169]
	v_fmac_f64_e32 v[180:181], s[12:13], v[224:225]
	v_fmac_f64_e32 v[240:241], s[24:25], v[172:173]
	;; [unrolled: 1-line block ×3, first 2 shown]
	v_add_f64 v[174:175], v[182:183], v[184:185]
	ds_read_b128 v[184:187], v196 offset:784
	v_add_f64 v[160:161], v[160:161], v[222:223]
	v_fmac_f64_e32 v[242:243], s[2:3], v[236:237]
	v_fmac_f64_e32 v[244:245], s[2:3], v[238:239]
	;; [unrolled: 1-line block ×3, first 2 shown]
	v_add_f64 v[172:173], v[180:181], v[222:223]
	v_fmac_f64_e32 v[240:241], s[2:3], v[236:237]
	v_fmac_f64_e32 v[232:233], s[2:3], v[238:239]
	v_add_f64 v[164:165], v[160:161], -v[244:245]
	v_add_f64 v[166:167], v[242:243], v[162:163]
	v_add_f64 v[160:161], v[160:161], v[244:245]
	v_add_f64 v[162:163], v[162:163], -v[242:243]
	v_add_f64 v[178:179], v[226:227], -v[170:171]
	v_add_f64 v[170:171], v[170:171], v[226:227]
	v_add_f64 v[180:181], v[172:173], v[232:233]
	v_add_f64 v[182:183], v[174:175], -v[240:241]
	v_add_f64 v[172:173], v[172:173], -v[232:233]
	v_add_f64 v[174:175], v[240:241], v[174:175]
	s_waitcnt lgkmcnt(0)
	; wave barrier
	s_waitcnt lgkmcnt(0)
	ds_write_b128 v201, v[156:159]
	ds_write_b128 v201, v[180:183] offset:16
	ds_write_b128 v201, v[176:179] offset:32
	ds_write_b128 v201, v[164:167] offset:48
	ds_write_b128 v201, v[160:163] offset:64
	ds_write_b128 v201, v[168:171] offset:80
	ds_write_b128 v201, v[172:175] offset:96
	v_add_f64 v[156:157], v[210:211], v[188:189]
	v_add_f64 v[160:161], v[212:213], v[156:157]
	;; [unrolled: 1-line block ×6, first 2 shown]
	v_mov_b64_e32 v[178:179], v[158:159]
	v_mov_b64_e32 v[176:177], v[156:157]
	v_fmac_f64_e32 v[178:179], s[26:27], v[162:163]
	v_add_f64 v[182:183], v[214:215], -v[208:209]
	v_add_f64 v[162:163], v[216:217], -v[206:207]
	v_fmac_f64_e32 v[176:177], s[26:27], v[160:161]
	v_add_f64 v[170:171], v[208:209], -v[190:191]
	v_add_f64 v[160:161], v[216:217], v[206:207]
	v_add_f64 v[172:173], v[206:207], -v[192:193]
	v_add_f64 v[164:165], v[218:219], v[204:205]
	v_add_f64 v[166:167], v[218:219], -v[204:205]
	v_add_f64 v[174:175], v[204:205], -v[194:195]
	v_mul_f64 v[204:205], v[162:163], s[6:7]
	v_mul_f64 v[162:163], v[182:183], s[12:13]
	v_add_f64 v[180:181], v[212:213], -v[210:211]
	v_add_f64 v[184:185], v[160:161], v[192:193]
	v_fma_f64 v[162:163], v[170:171], s[20:21], -v[162:163]
	v_fma_f64 v[208:209], v[172:173], s[8:9], -v[204:205]
	v_add_f64 v[168:169], v[210:211], -v[188:189]
	v_mul_f64 v[206:207], v[166:167], s[6:7]
	v_mul_f64 v[160:161], v[180:181], s[12:13]
	v_add_f64 v[166:167], v[162:163], v[178:179]
	v_fmac_f64_e32 v[208:209], s[2:3], v[184:185]
	v_add_f64 v[188:189], v[188:189], -v[212:213]
	v_add_f64 v[190:191], v[190:191], -v[214:215]
	v_add_f64 v[186:187], v[164:165], v[194:195]
	v_fma_f64 v[160:161], v[168:169], s[20:21], -v[160:161]
	v_fma_f64 v[210:211], v[174:175], s[8:9], -v[206:207]
	v_add_f64 v[162:163], v[208:209], v[166:167]
	v_add_f64 v[166:167], v[166:167], -v[208:209]
	v_add_f64 v[192:193], v[192:193], -v[216:217]
	;; [unrolled: 1-line block ×3, first 2 shown]
	v_mul_f64 v[188:189], v[188:189], s[14:15]
	v_mul_f64 v[190:191], v[190:191], s[14:15]
	;; [unrolled: 1-line block ×4, first 2 shown]
	v_add_f64 v[164:165], v[160:161], v[176:177]
	v_fmac_f64_e32 v[210:211], s[2:3], v[186:187]
	v_fma_f64 v[168:169], v[168:169], s[22:23], -v[188:189]
	v_fma_f64 v[170:171], v[170:171], s[22:23], -v[190:191]
	v_fmac_f64_e32 v[208:209], s[16:17], v[192:193]
	v_fmac_f64_e32 v[172:173], s[16:17], v[194:195]
	;; [unrolled: 1-line block ×6, first 2 shown]
	v_add_f64 v[160:161], v[164:165], -v[210:211]
	v_add_f64 v[164:165], v[164:165], v[210:211]
	v_add_f64 v[174:175], v[168:169], v[176:177]
	;; [unrolled: 1-line block ×3, first 2 shown]
	v_fmac_f64_e32 v[208:209], s[2:3], v[184:185]
	v_fmac_f64_e32 v[172:173], s[2:3], v[186:187]
	v_add_f64 v[180:181], v[188:189], v[176:177]
	v_add_f64 v[182:183], v[190:191], v[178:179]
	v_fmac_f64_e32 v[204:205], s[2:3], v[184:185]
	v_fmac_f64_e32 v[206:207], s[2:3], v[186:187]
	v_add_f64 v[168:169], v[174:175], v[172:173]
	v_add_f64 v[170:171], v[210:211], -v[208:209]
	v_add_f64 v[172:173], v[174:175], -v[172:173]
	v_add_f64 v[174:175], v[208:209], v[210:211]
	v_add_f64 v[176:177], v[180:181], v[206:207]
	v_add_f64 v[178:179], v[182:183], -v[204:205]
	v_add_f64 v[180:181], v[180:181], -v[206:207]
	v_add_f64 v[182:183], v[204:205], v[182:183]
	ds_write_b128 v199, v[156:159]
	ds_write_b128 v199, v[176:179] offset:16
	ds_write_b128 v199, v[168:171] offset:32
	;; [unrolled: 1-line block ×6, first 2 shown]
	s_waitcnt lgkmcnt(0)
	; wave barrier
	s_waitcnt lgkmcnt(0)
	ds_read_b128 v[156:159], v196 offset:1568
	v_mov_b32_e32 v199, v202
	s_waitcnt lgkmcnt(0)
	v_mul_f64 v[164:165], v[118:119], v[158:159]
	v_mul_f64 v[118:119], v[118:119], v[156:157]
	v_fmac_f64_e32 v[164:165], v[116:117], v[156:157]
	v_fma_f64 v[166:167], v[116:117], v[158:159], -v[118:119]
	ds_read_b128 v[116:119], v196 offset:3136
	s_waitcnt lgkmcnt(0)
	v_mul_f64 v[168:169], v[114:115], v[118:119]
	v_mul_f64 v[114:115], v[114:115], v[116:117]
	v_fmac_f64_e32 v[168:169], v[112:113], v[116:117]
	v_fma_f64 v[170:171], v[112:113], v[118:119], -v[114:115]
	ds_read_b128 v[112:115], v196 offset:4704
	;; [unrolled: 6-line block ×4, first 2 shown]
	s_waitcnt lgkmcnt(0)
	v_mul_f64 v[98:99], v[126:127], v[114:115]
	v_fmac_f64_e32 v[98:99], v[124:125], v[112:113]
	v_mul_f64 v[112:113], v[126:127], v[112:113]
	v_fma_f64 v[174:175], v[124:125], v[114:115], -v[112:113]
	ds_read_b128 v[112:115], v196 offset:9408
	s_waitcnt lgkmcnt(0)
	v_mul_f64 v[176:177], v[122:123], v[114:115]
	v_fmac_f64_e32 v[176:177], v[120:121], v[112:113]
	v_mul_f64 v[112:113], v[122:123], v[112:113]
	v_fma_f64 v[178:179], v[120:121], v[114:115], -v[112:113]
	ds_read_b128 v[114:117], v196 offset:2352
	s_waitcnt lgkmcnt(0)
	v_mul_f64 v[112:113], v[74:75], v[116:117]
	v_mul_f64 v[74:75], v[74:75], v[114:115]
	v_fmac_f64_e32 v[112:113], v[72:73], v[114:115]
	v_fma_f64 v[114:115], v[72:73], v[116:117], -v[74:75]
	ds_read_b128 v[72:75], v196 offset:3920
	s_waitcnt lgkmcnt(0)
	v_mul_f64 v[116:117], v[66:67], v[74:75]
	v_mul_f64 v[66:67], v[66:67], v[72:73]
	v_fmac_f64_e32 v[116:117], v[64:65], v[72:73]
	v_fma_f64 v[118:119], v[64:65], v[74:75], -v[66:67]
	ds_read_b128 v[64:67], v196 offset:5488
	v_add_f64 v[72:73], v[164:165], v[176:177]
	v_add_f64 v[74:75], v[172:173], v[106:107]
	v_add_f64 v[106:107], v[106:107], -v[172:173]
	s_waitcnt lgkmcnt(0)
	v_mul_f64 v[120:121], v[62:63], v[66:67]
	v_mul_f64 v[62:63], v[62:63], v[64:65]
	v_fmac_f64_e32 v[120:121], v[60:61], v[64:65]
	v_fma_f64 v[122:123], v[60:61], v[66:67], -v[62:63]
	ds_read_b128 v[60:63], v196 offset:7056
	v_add_f64 v[64:65], v[170:171], v[174:175]
	s_waitcnt lgkmcnt(0)
	v_mul_f64 v[124:125], v[58:59], v[62:63]
	v_mul_f64 v[58:59], v[58:59], v[60:61]
	v_fmac_f64_e32 v[124:125], v[56:57], v[60:61]
	v_fma_f64 v[126:127], v[56:57], v[62:63], -v[58:59]
	ds_read_b128 v[56:59], v196 offset:8624
	v_add_f64 v[60:61], v[168:169], v[98:99]
	v_add_f64 v[98:99], v[168:169], -v[98:99]
	v_add_f64 v[168:169], v[60:61], -v[72:73]
	s_waitcnt lgkmcnt(0)
	v_mul_f64 v[156:157], v[110:111], v[58:59]
	v_fmac_f64_e32 v[156:157], v[108:109], v[56:57]
	v_mul_f64 v[56:57], v[110:111], v[56:57]
	v_fma_f64 v[158:159], v[108:109], v[58:59], -v[56:57]
	ds_read_b128 v[56:59], v196 offset:10192
	v_add_f64 v[108:109], v[164:165], -v[176:177]
	v_add_f64 v[110:111], v[166:167], -v[178:179]
	;; [unrolled: 1-line block ×4, first 2 shown]
	s_waitcnt lgkmcnt(0)
	v_mul_f64 v[160:161], v[90:91], v[58:59]
	v_fmac_f64_e32 v[160:161], v[88:89], v[56:57]
	v_mul_f64 v[56:57], v[90:91], v[56:57]
	v_fma_f64 v[162:163], v[88:89], v[58:59], -v[56:57]
	v_add_f64 v[56:57], v[60:61], v[72:73]
	v_add_f64 v[88:89], v[166:167], v[178:179]
	;; [unrolled: 1-line block ×6, first 2 shown]
	ds_read_b128 v[56:59], v196
	v_add_f64 v[96:97], v[96:97], -v[104:105]
	v_add_f64 v[60:61], v[106:107], v[98:99]
	v_add_f64 v[72:73], v[72:73], -v[74:75]
	v_add_f64 v[74:75], v[88:89], -v[90:91]
	s_waitcnt lgkmcnt(0)
	v_add_f64 v[56:57], v[56:57], v[62:63]
	v_add_f64 v[58:59], v[58:59], v[66:67]
	v_mov_b64_e32 v[104:105], v[56:57]
	v_fmac_f64_e32 v[104:105], s[26:27], v[62:63]
	v_mov_b64_e32 v[166:167], v[58:59]
	v_add_f64 v[62:63], v[106:107], -v[98:99]
	v_add_f64 v[98:99], v[98:99], -v[108:109]
	v_fmac_f64_e32 v[166:167], s[26:27], v[66:67]
	v_add_f64 v[172:173], v[64:65], -v[88:89]
	v_add_f64 v[66:67], v[96:97], -v[164:165]
	v_add_f64 v[176:177], v[60:61], v[108:109]
	v_mul_f64 v[180:181], v[62:63], s[6:7]
	v_add_f64 v[88:89], v[108:109], -v[106:107]
	v_mul_f64 v[108:109], v[74:75], s[14:15]
	v_mul_f64 v[74:75], v[98:99], s[18:19]
	v_add_f64 v[174:175], v[90:91], -v[64:65]
	v_add_f64 v[64:65], v[96:97], v[164:165]
	v_add_f64 v[164:165], v[164:165], -v[110:111]
	v_mul_f64 v[182:183], v[66:67], s[6:7]
	v_fma_f64 v[184:185], v[98:99], s[8:9], -v[180:181]
	v_fma_f64 v[98:99], v[172:173], s[22:23], -v[108:109]
	v_fmac_f64_e32 v[74:75], s[16:17], v[88:89]
	v_mul_f64 v[62:63], v[174:175], s[12:13]
	v_fma_f64 v[186:187], v[164:165], s[8:9], -v[182:183]
	v_mul_f64 v[106:107], v[72:73], s[14:15]
	v_mul_f64 v[72:73], v[164:165], s[18:19]
	v_add_f64 v[164:165], v[98:99], v[166:167]
	v_fmac_f64_e32 v[74:75], s[2:3], v[176:177]
	v_mul_f64 v[60:61], v[170:171], s[12:13]
	v_fma_f64 v[62:63], v[172:173], s[20:21], -v[62:63]
	v_add_f64 v[90:91], v[110:111], -v[96:97]
	v_add_f64 v[98:99], v[164:165], -v[74:75]
	v_add_f64 v[74:75], v[74:75], v[164:165]
	v_fmac_f64_e32 v[108:109], s[12:13], v[174:175]
	v_add_f64 v[164:165], v[112:113], v[160:161]
	v_add_f64 v[172:173], v[116:117], v[156:157]
	;; [unrolled: 1-line block ×3, first 2 shown]
	v_fma_f64 v[60:61], v[168:169], s[20:21], -v[60:61]
	v_add_f64 v[62:63], v[62:63], v[166:167]
	v_fma_f64 v[96:97], v[168:169], s[22:23], -v[106:107]
	v_fmac_f64_e32 v[72:73], s[16:17], v[90:91]
	v_fmac_f64_e32 v[180:181], s[24:25], v[88:89]
	;; [unrolled: 1-line block ×3, first 2 shown]
	v_add_f64 v[90:91], v[108:109], v[166:167]
	v_add_f64 v[166:167], v[120:121], v[124:125]
	v_add_f64 v[108:109], v[172:173], v[164:165]
	v_add_f64 v[168:169], v[114:115], v[162:163]
	v_add_f64 v[174:175], v[118:119], v[158:159]
	v_fmac_f64_e32 v[184:185], s[2:3], v[176:177]
	v_add_f64 v[110:111], v[96:97], v[104:105]
	v_fmac_f64_e32 v[72:73], s[2:3], v[178:179]
	v_fmac_f64_e32 v[106:107], s[12:13], v[170:171]
	;; [unrolled: 1-line block ×3, first 2 shown]
	v_add_f64 v[176:177], v[166:167], v[108:109]
	v_add_f64 v[170:171], v[122:123], v[126:127]
	v_add_f64 v[108:109], v[174:175], v[168:169]
	v_fmac_f64_e32 v[186:187], s[2:3], v[178:179]
	v_add_f64 v[96:97], v[72:73], v[110:111]
	v_add_f64 v[72:73], v[110:111], -v[72:73]
	v_fmac_f64_e32 v[182:183], s[2:3], v[178:179]
	v_add_f64 v[178:179], v[170:171], v[108:109]
	ds_read_b128 v[108:111], v196 offset:784
	v_add_f64 v[160:161], v[112:113], -v[160:161]
	v_add_f64 v[162:163], v[114:115], -v[162:163]
	;; [unrolled: 1-line block ×4, first 2 shown]
	s_waitcnt lgkmcnt(0)
	v_add_f64 v[108:109], v[108:109], v[176:177]
	v_add_f64 v[110:111], v[110:111], v[178:179]
	v_add_f64 v[120:121], v[124:125], -v[120:121]
	v_add_f64 v[122:123], v[126:127], -v[122:123]
	v_mov_b64_e32 v[124:125], v[108:109]
	v_mov_b64_e32 v[126:127], v[110:111]
	v_add_f64 v[60:61], v[60:61], v[104:105]
	v_fmac_f64_e32 v[124:125], s[26:27], v[176:177]
	v_fmac_f64_e32 v[126:127], s[26:27], v[178:179]
	v_add_f64 v[156:157], v[172:173], -v[164:165]
	v_add_f64 v[172:173], v[166:167], -v[172:173]
	v_add_f64 v[158:159], v[174:175], -v[168:169]
	v_add_f64 v[174:175], v[170:171], -v[174:175]
	v_add_f64 v[116:117], v[120:121], v[112:113]
	v_add_f64 v[118:119], v[120:121], -v[112:113]
	v_add_f64 v[176:177], v[112:113], -v[160:161]
	v_add_f64 v[112:113], v[122:123], v[114:115]
	v_add_f64 v[178:179], v[122:123], -v[114:115]
	v_add_f64 v[64:65], v[60:61], -v[186:187]
	v_add_f64 v[66:67], v[184:185], v[62:63]
	v_add_f64 v[60:61], v[186:187], v[60:61]
	v_add_f64 v[62:63], v[62:63], -v[184:185]
	v_add_f64 v[88:89], v[106:107], v[104:105]
	v_add_f64 v[106:107], v[90:91], -v[180:181]
	;; [unrolled: 2-line block ×3, first 2 shown]
	v_add_f64 v[184:185], v[112:113], v[162:163]
	v_mul_f64 v[186:187], v[118:119], s[6:7]
	v_mul_f64 v[178:179], v[178:179], s[6:7]
	;; [unrolled: 1-line block ×4, first 2 shown]
	v_add_f64 v[164:165], v[164:165], -v[166:167]
	v_add_f64 v[166:167], v[168:169], -v[170:171]
	v_add_f64 v[104:105], v[182:183], v[88:89]
	v_add_f64 v[88:89], v[88:89], -v[182:183]
	v_add_f64 v[182:183], v[116:117], v[160:161]
	v_fma_f64 v[112:113], v[156:157], s[20:21], -v[112:113]
	v_fma_f64 v[114:115], v[158:159], s[20:21], -v[114:115]
	;; [unrolled: 1-line block ×4, first 2 shown]
	v_add_f64 v[160:161], v[160:161], -v[120:121]
	v_add_f64 v[162:163], v[162:163], -v[122:123]
	v_mul_f64 v[164:165], v[164:165], s[14:15]
	v_mul_f64 v[166:167], v[166:167], s[14:15]
	;; [unrolled: 1-line block ×4, first 2 shown]
	v_add_f64 v[112:113], v[112:113], v[124:125]
	v_add_f64 v[114:115], v[114:115], v[126:127]
	v_fmac_f64_e32 v[188:189], s[2:3], v[182:183]
	v_fmac_f64_e32 v[190:191], s[2:3], v[184:185]
	v_fma_f64 v[156:157], v[156:157], s[22:23], -v[164:165]
	v_fma_f64 v[158:159], v[158:159], s[22:23], -v[166:167]
	v_fmac_f64_e32 v[122:123], s[16:17], v[160:161]
	v_fmac_f64_e32 v[120:121], s[16:17], v[162:163]
	;; [unrolled: 1-line block ×6, first 2 shown]
	v_add_f64 v[116:117], v[112:113], -v[190:191]
	v_add_f64 v[118:119], v[188:189], v[114:115]
	v_add_f64 v[112:113], v[190:191], v[112:113]
	v_add_f64 v[114:115], v[114:115], -v[188:189]
	v_add_f64 v[168:169], v[156:157], v[124:125]
	v_add_f64 v[170:171], v[158:159], v[126:127]
	v_fmac_f64_e32 v[122:123], s[2:3], v[182:183]
	v_fmac_f64_e32 v[120:121], s[2:3], v[184:185]
	v_add_f64 v[124:125], v[164:165], v[124:125]
	v_add_f64 v[126:127], v[166:167], v[126:127]
	v_fmac_f64_e32 v[186:187], s[2:3], v[182:183]
	v_fmac_f64_e32 v[178:179], s[2:3], v[184:185]
	v_add_f64 v[156:157], v[120:121], v[168:169]
	v_add_f64 v[158:159], v[170:171], -v[122:123]
	v_add_f64 v[120:121], v[168:169], -v[120:121]
	v_add_f64 v[122:123], v[122:123], v[170:171]
	v_add_f64 v[160:161], v[178:179], v[124:125]
	v_add_f64 v[162:163], v[126:127], -v[186:187]
	v_add_f64 v[124:125], v[124:125], -v[178:179]
	v_add_f64 v[126:127], v[186:187], v[126:127]
	s_waitcnt lgkmcnt(0)
	; wave barrier
	ds_write_b128 v221, v[56:59]
	ds_write_b128 v221, v[104:107] offset:112
	ds_write_b128 v221, v[96:99] offset:224
	;; [unrolled: 1-line block ×6, first 2 shown]
	ds_write_b128 v220, v[108:111]
	ds_write_b128 v220, v[160:163] offset:112
	ds_write_b128 v220, v[156:159] offset:224
	;; [unrolled: 1-line block ×6, first 2 shown]
	s_waitcnt lgkmcnt(0)
	; wave barrier
	s_waitcnt lgkmcnt(0)
	ds_read_b128 v[56:59], v196
	ds_read_b128 v[64:67], v196 offset:1568
	ds_read_b128 v[72:75], v196 offset:3136
	;; [unrolled: 1-line block ×7, first 2 shown]
	s_waitcnt lgkmcnt(6)
	v_mul_f64 v[116:117], v[86:87], v[66:67]
	v_fmac_f64_e32 v[116:117], v[84:85], v[64:65]
	v_mul_f64 v[64:65], v[86:87], v[64:65]
	v_fma_f64 v[118:119], v[84:85], v[66:67], -v[64:65]
	s_waitcnt lgkmcnt(0)
	v_mul_f64 v[88:89], v[86:87], v[114:115]
	v_mul_f64 v[64:65], v[86:87], v[112:113]
	v_fmac_f64_e32 v[88:89], v[84:85], v[112:113]
	v_fma_f64 v[84:85], v[84:85], v[114:115], -v[64:65]
	ds_read_b128 v[64:67], v196 offset:3920
	ds_read_b128 v[124:127], v196 offset:784
	v_mul_f64 v[112:113], v[82:83], v[74:75]
	v_fmac_f64_e32 v[112:113], v[80:81], v[72:73]
	v_mul_f64 v[72:73], v[82:83], v[72:73]
	s_waitcnt lgkmcnt(1)
	v_mul_f64 v[86:87], v[82:83], v[66:67]
	v_fmac_f64_e32 v[86:87], v[80:81], v[64:65]
	v_mul_f64 v[64:65], v[82:83], v[64:65]
	v_fma_f64 v[90:91], v[80:81], v[66:67], -v[64:65]
	ds_read_b128 v[64:67], v196 offset:5488
	v_fma_f64 v[72:73], v[80:81], v[74:75], -v[72:73]
	v_mul_f64 v[74:75], v[78:79], v[98:99]
	v_fmac_f64_e32 v[74:75], v[76:77], v[96:97]
	v_mul_f64 v[80:81], v[78:79], v[96:97]
	s_waitcnt lgkmcnt(0)
	v_mul_f64 v[96:97], v[78:79], v[66:67]
	v_fmac_f64_e32 v[96:97], v[76:77], v[64:65]
	v_mul_f64 v[64:65], v[78:79], v[64:65]
	v_fma_f64 v[80:81], v[76:77], v[98:99], -v[80:81]
	v_fma_f64 v[98:99], v[76:77], v[66:67], -v[64:65]
	ds_read_b128 v[64:67], v196 offset:7056
	v_mul_f64 v[76:77], v[70:71], v[106:107]
	v_fmac_f64_e32 v[76:77], v[68:69], v[104:105]
	v_mul_f64 v[78:79], v[70:71], v[104:105]
	v_fma_f64 v[78:79], v[68:69], v[106:107], -v[78:79]
	s_waitcnt lgkmcnt(0)
	v_mul_f64 v[104:105], v[70:71], v[66:67]
	v_fmac_f64_e32 v[104:105], v[68:69], v[64:65]
	v_mul_f64 v[64:65], v[70:71], v[64:65]
	v_fma_f64 v[106:107], v[68:69], v[66:67], -v[64:65]
	ds_read_b128 v[64:67], v196 offset:8624
	v_mul_f64 v[68:69], v[94:95], v[110:111]
	v_fmac_f64_e32 v[68:69], v[92:93], v[108:109]
	v_mul_f64 v[70:71], v[94:95], v[108:109]
	v_fma_f64 v[70:71], v[92:93], v[110:111], -v[70:71]
	s_waitcnt lgkmcnt(0)
	v_mul_f64 v[108:109], v[94:95], v[66:67]
	v_fmac_f64_e32 v[108:109], v[92:93], v[64:65]
	v_mul_f64 v[64:65], v[94:95], v[64:65]
	v_fma_f64 v[92:93], v[92:93], v[66:67], -v[64:65]
	ds_read_b128 v[64:67], v196 offset:10192
	v_mul_f64 v[82:83], v[102:103], v[62:63]
	v_fmac_f64_e32 v[82:83], v[100:101], v[60:61]
	v_mul_f64 v[60:61], v[102:103], v[60:61]
	v_fma_f64 v[60:61], v[100:101], v[62:63], -v[60:61]
	s_waitcnt lgkmcnt(0)
	v_mul_f64 v[94:95], v[102:103], v[66:67]
	v_mul_f64 v[62:63], v[102:103], v[64:65]
	v_fmac_f64_e32 v[94:95], v[100:101], v[64:65]
	v_fma_f64 v[100:101], v[100:101], v[66:67], -v[62:63]
	v_add_f64 v[62:63], v[116:117], v[82:83]
	v_add_f64 v[66:67], v[116:117], -v[82:83]
	v_add_f64 v[82:83], v[112:113], v[68:69]
	v_add_f64 v[64:65], v[118:119], v[60:61]
	;; [unrolled: 1-line block ×3, first 2 shown]
	v_add_f64 v[70:71], v[72:73], -v[70:71]
	v_add_f64 v[72:73], v[74:75], v[76:77]
	v_add_f64 v[110:111], v[80:81], v[78:79]
	v_add_f64 v[74:75], v[76:77], -v[74:75]
	v_add_f64 v[76:77], v[78:79], -v[80:81]
	v_add_f64 v[78:79], v[82:83], v[62:63]
	v_add_f64 v[68:69], v[112:113], -v[68:69]
	v_add_f64 v[80:81], v[102:103], v[64:65]
	v_add_f64 v[112:113], v[82:83], -v[62:63]
	v_add_f64 v[62:63], v[62:63], -v[72:73]
	;; [unrolled: 1-line block ×3, first 2 shown]
	v_add_f64 v[72:73], v[72:73], v[78:79]
	v_add_f64 v[60:61], v[118:119], -v[60:61]
	v_add_f64 v[116:117], v[74:75], v[68:69]
	v_add_f64 v[78:79], v[110:111], v[80:81]
	;; [unrolled: 1-line block ×4, first 2 shown]
	v_add_f64 v[114:115], v[102:103], -v[64:65]
	v_add_f64 v[64:65], v[64:65], -v[110:111]
	v_add_f64 v[102:103], v[110:111], -v[102:103]
	v_add_f64 v[58:59], v[58:59], v[78:79]
	v_add_f64 v[110:111], v[74:75], -v[68:69]
	v_add_f64 v[74:75], v[66:67], -v[74:75]
	v_add_f64 v[68:69], v[68:69], -v[66:67]
	v_add_f64 v[66:67], v[116:117], v[66:67]
	;; [unrolled: 4-line block ×3, first 2 shown]
	v_mov_b64_e32 v[80:81], v[56:57]
	v_fmac_f64_e32 v[80:81], s[26:27], v[72:73]
	v_mov_b64_e32 v[72:73], v[58:59]
	v_mul_f64 v[62:63], v[62:63], s[14:15]
	v_fmac_f64_e32 v[72:73], s[26:27], v[78:79]
	v_mul_f64 v[78:79], v[82:83], s[12:13]
	v_mul_f64 v[64:65], v[64:65], s[14:15]
	v_fma_f64 v[78:79], v[112:113], s[20:21], -v[78:79]
	v_fma_f64 v[112:113], v[112:113], s[22:23], -v[62:63]
	v_fmac_f64_e32 v[62:63], s[12:13], v[82:83]
	v_mul_f64 v[82:83], v[102:103], s[12:13]
	v_mul_f64 v[110:111], v[110:111], s[6:7]
	;; [unrolled: 1-line block ×3, first 2 shown]
	v_fma_f64 v[82:83], v[114:115], s[20:21], -v[82:83]
	v_fma_f64 v[114:115], v[114:115], s[22:23], -v[64:65]
	v_fmac_f64_e32 v[64:65], s[12:13], v[102:103]
	v_mul_f64 v[102:103], v[68:69], s[18:19]
	v_fma_f64 v[118:119], v[68:69], s[8:9], -v[110:111]
	v_fmac_f64_e32 v[102:103], s[16:17], v[74:75]
	v_mul_f64 v[120:121], v[70:71], s[18:19]
	v_fma_f64 v[68:69], v[70:71], s[8:9], -v[116:117]
	v_fmac_f64_e32 v[116:117], s[24:25], v[76:77]
	v_fmac_f64_e32 v[110:111], s[24:25], v[74:75]
	;; [unrolled: 1-line block ×3, first 2 shown]
	v_add_f64 v[62:63], v[62:63], v[80:81]
	v_add_f64 v[114:115], v[114:115], v[72:73]
	v_fmac_f64_e32 v[116:117], s[2:3], v[60:61]
	v_fmac_f64_e32 v[102:103], s[2:3], v[66:67]
	v_add_f64 v[122:123], v[64:65], v[72:73]
	v_add_f64 v[64:65], v[78:79], v[80:81]
	;; [unrolled: 1-line block ×4, first 2 shown]
	v_fmac_f64_e32 v[110:111], s[2:3], v[66:67]
	v_fmac_f64_e32 v[118:119], s[2:3], v[66:67]
	;; [unrolled: 1-line block ×4, first 2 shown]
	v_add_f64 v[76:77], v[116:117], v[62:63]
	v_add_f64 v[82:83], v[114:115], -v[102:103]
	v_add_f64 v[66:67], v[102:103], v[114:115]
	v_add_f64 v[60:61], v[62:63], -v[116:117]
	v_add_f64 v[114:115], v[88:89], v[94:95]
	v_add_f64 v[116:117], v[86:87], v[108:109]
	v_add_f64 v[78:79], v[122:123], -v[110:111]
	v_add_f64 v[72:73], v[64:65], -v[68:69]
	v_add_f64 v[74:75], v[118:119], v[70:71]
	v_add_f64 v[68:69], v[68:69], v[64:65]
	v_add_f64 v[70:71], v[70:71], -v[118:119]
	v_add_f64 v[80:81], v[120:121], v[112:113]
	v_add_f64 v[64:65], v[112:113], -v[120:121]
	v_add_f64 v[62:63], v[110:111], v[122:123]
	v_add_f64 v[112:113], v[84:85], v[100:101]
	;; [unrolled: 1-line block ×6, first 2 shown]
	v_add_f64 v[86:87], v[86:87], -v[108:109]
	v_add_f64 v[90:91], v[90:91], -v[92:93]
	;; [unrolled: 1-line block ×3, first 2 shown]
	v_add_f64 v[102:103], v[120:121], v[102:103]
	v_add_f64 v[110:111], v[118:119], v[112:113]
	v_add_f64 v[88:89], v[88:89], -v[94:95]
	v_add_f64 v[94:95], v[106:107], -v[98:99]
	;; [unrolled: 1-line block ×4, first 2 shown]
	v_add_f64 v[112:113], v[92:93], v[86:87]
	v_add_f64 v[110:111], v[122:123], v[110:111]
	;; [unrolled: 1-line block ×3, first 2 shown]
	v_add_f64 v[84:85], v[84:85], -v[100:101]
	v_add_f64 v[96:97], v[116:117], -v[114:115]
	;; [unrolled: 1-line block ×6, first 2 shown]
	v_add_f64 v[88:89], v[112:113], v[88:89]
	v_add_f64 v[112:113], v[94:95], v[90:91]
	;; [unrolled: 1-line block ×3, first 2 shown]
	v_add_f64 v[100:101], v[120:121], -v[116:117]
	v_add_f64 v[116:117], v[94:95], -v[90:91]
	;; [unrolled: 1-line block ×4, first 2 shown]
	v_add_f64 v[84:85], v[112:113], v[84:85]
	v_mov_b64_e32 v[112:113], v[124:125]
	v_fmac_f64_e32 v[112:113], s[26:27], v[102:103]
	v_mov_b64_e32 v[102:103], v[126:127]
	v_add_f64 v[108:109], v[122:123], -v[118:119]
	v_fmac_f64_e32 v[102:103], s[26:27], v[110:111]
	v_mul_f64 v[98:99], v[98:99], s[14:15]
	v_mul_f64 v[110:111], v[100:101], s[12:13]
	v_fma_f64 v[100:101], s[12:13], v[100:101], v[98:99]
	v_fma_f64 v[110:111], v[96:97], s[20:21], -v[110:111]
	v_fma_f64 v[96:97], v[96:97], s[22:23], -v[98:99]
	v_mul_f64 v[98:99], v[106:107], s[14:15]
	v_mul_f64 v[106:107], v[108:109], s[12:13]
	v_fma_f64 v[106:107], v[104:105], s[20:21], -v[106:107]
	v_fma_f64 v[104:105], v[104:105], s[22:23], -v[98:99]
	v_fmac_f64_e32 v[98:99], s[12:13], v[108:109]
	v_mul_f64 v[108:109], v[114:115], s[6:7]
	v_mul_f64 v[114:115], v[86:87], s[18:19]
	;; [unrolled: 1-line block ×4, first 2 shown]
	v_fma_f64 v[118:119], v[86:87], s[8:9], -v[108:109]
	v_fma_f64 v[108:109], s[24:25], v[92:93], v[108:109]
	v_fmac_f64_e32 v[114:115], s[16:17], v[92:93]
	v_fma_f64 v[90:91], v[90:91], s[8:9], -v[116:117]
	v_fmac_f64_e32 v[116:117], s[24:25], v[94:95]
	v_fmac_f64_e32 v[120:121], s[16:17], v[94:95]
	v_add_f64 v[122:123], v[100:101], v[112:113]
	v_add_f64 v[92:93], v[110:111], v[112:113]
	;; [unrolled: 1-line block ×6, first 2 shown]
	v_fmac_f64_e32 v[108:109], s[2:3], v[88:89]
	v_fmac_f64_e32 v[116:117], s[2:3], v[84:85]
	;; [unrolled: 1-line block ×6, first 2 shown]
	v_add_f64 v[84:85], v[92:93], -v[90:91]
	v_add_f64 v[86:87], v[118:119], v[94:95]
	v_add_f64 v[88:89], v[90:91], v[92:93]
	v_add_f64 v[90:91], v[94:95], -v[118:119]
	v_add_f64 v[92:93], v[120:121], v[96:97]
	v_add_f64 v[94:95], v[98:99], -v[114:115]
	v_add_f64 v[96:97], v[96:97], -v[120:121]
	v_add_f64 v[98:99], v[114:115], v[98:99]
	v_add_f64 v[100:101], v[116:117], v[122:123]
	v_add_f64 v[102:103], v[110:111], -v[108:109]
	v_add_f64 v[104:105], v[122:123], -v[116:117]
	v_add_f64 v[106:107], v[108:109], v[110:111]
	s_waitcnt lgkmcnt(0)
	; wave barrier
	ds_write_b128 v196, v[56:59]
	ds_write_b128 v196, v[76:79] offset:784
	ds_write_b128 v196, v[80:83] offset:1568
	;; [unrolled: 1-line block ×13, first 2 shown]
	s_waitcnt lgkmcnt(0)
	; wave barrier
	s_waitcnt lgkmcnt(0)
	ds_read_b128 v[56:59], v196
	ds_read_b128 v[60:63], v196 offset:5488
	ds_read_b128 v[64:67], v196 offset:784
	;; [unrolled: 1-line block ×13, first 2 shown]
	s_waitcnt lgkmcnt(12)
	v_mul_f64 v[112:113], v[130:131], v[62:63]
	v_fmac_f64_e32 v[112:113], v[128:129], v[60:61]
	v_mul_f64 v[60:61], v[130:131], v[60:61]
	v_fma_f64 v[62:63], v[128:129], v[62:63], -v[60:61]
	s_waitcnt lgkmcnt(10)
	v_mul_f64 v[60:61], v[134:135], v[68:69]
	v_mul_f64 v[114:115], v[134:135], v[70:71]
	v_fma_f64 v[70:71], v[132:133], v[70:71], -v[60:61]
	s_waitcnt lgkmcnt(8)
	v_mul_f64 v[60:61], v[138:139], v[76:77]
	v_mul_f64 v[116:117], v[138:139], v[78:79]
	v_fma_f64 v[78:79], v[136:137], v[78:79], -v[60:61]
	s_waitcnt lgkmcnt(6)
	v_mul_f64 v[60:61], v[142:143], v[84:85]
	v_mul_f64 v[118:119], v[142:143], v[86:87]
	v_fma_f64 v[86:87], v[140:141], v[86:87], -v[60:61]
	s_waitcnt lgkmcnt(4)
	v_mul_f64 v[60:61], v[146:147], v[92:93]
	v_mul_f64 v[120:121], v[146:147], v[94:95]
	v_fma_f64 v[94:95], v[144:145], v[94:95], -v[60:61]
	s_waitcnt lgkmcnt(2)
	v_mul_f64 v[60:61], v[150:151], v[100:101]
	v_mul_f64 v[122:123], v[150:151], v[102:103]
	v_fma_f64 v[102:103], v[148:149], v[102:103], -v[60:61]
	s_waitcnt lgkmcnt(0)
	v_mul_f64 v[124:125], v[154:155], v[110:111]
	v_mul_f64 v[60:61], v[154:155], v[108:109]
	v_fmac_f64_e32 v[114:115], v[132:133], v[68:69]
	v_fmac_f64_e32 v[116:117], v[136:137], v[76:77]
	;; [unrolled: 1-line block ×6, first 2 shown]
	v_fma_f64 v[110:111], v[152:153], v[110:111], -v[60:61]
	v_add_f64 v[60:61], v[56:57], -v[112:113]
	v_add_f64 v[62:63], v[58:59], -v[62:63]
	v_fma_f64 v[56:57], v[56:57], 2.0, -v[60:61]
	v_fma_f64 v[58:59], v[58:59], 2.0, -v[62:63]
	v_add_f64 v[68:69], v[64:65], -v[114:115]
	v_add_f64 v[70:71], v[66:67], -v[70:71]
	;; [unrolled: 1-line block ×12, first 2 shown]
	v_fma_f64 v[64:65], v[64:65], 2.0, -v[68:69]
	v_fma_f64 v[66:67], v[66:67], 2.0, -v[70:71]
	v_fma_f64 v[72:73], v[72:73], 2.0, -v[76:77]
	v_fma_f64 v[74:75], v[74:75], 2.0, -v[78:79]
	v_fma_f64 v[80:81], v[80:81], 2.0, -v[84:85]
	v_fma_f64 v[82:83], v[82:83], 2.0, -v[86:87]
	v_fma_f64 v[88:89], v[88:89], 2.0, -v[92:93]
	v_fma_f64 v[90:91], v[90:91], 2.0, -v[94:95]
	v_fma_f64 v[96:97], v[96:97], 2.0, -v[100:101]
	v_fma_f64 v[98:99], v[98:99], 2.0, -v[102:103]
	v_fma_f64 v[104:105], v[104:105], 2.0, -v[108:109]
	v_fma_f64 v[106:107], v[106:107], 2.0, -v[110:111]
	ds_write_b128 v196, v[56:59]
	ds_write_b128 v196, v[60:63] offset:5488
	ds_write_b128 v196, v[64:67] offset:784
	;; [unrolled: 1-line block ×13, first 2 shown]
	s_waitcnt lgkmcnt(0)
	; wave barrier
	s_waitcnt lgkmcnt(0)
	ds_read_b128 v[56:59], v196
	v_mov_b32_e32 v64, s0
	v_mov_b32_e32 v65, s1
	s_mov_b32 s0, 0x515a4f1d
	s_mov_b32 s1, 0x3f57e225
	s_waitcnt lgkmcnt(0)
	v_mul_f64 v[60:61], v[30:31], v[58:59]
	v_mul_f64 v[30:31], v[30:31], v[56:57]
	v_fmac_f64_e32 v[60:61], v[28:29], v[56:57]
	v_fma_f64 v[28:29], v[28:29], v[58:59], -v[30:31]
	v_mad_u64_u32 v[56:57], s[2:3], s4, v200, 0
	v_mul_f64 v[62:63], v[28:29], s[0:1]
	v_mov_b32_e32 v28, v57
	v_mad_u64_u32 v[58:59], s[2:3], s5, v200, v[28:29]
	ds_read_b128 v[28:31], v196 offset:1568
	v_mov_b32_e32 v57, v58
	v_lshl_add_u64 v[58:59], v[198:199], 4, v[64:65]
	v_lshl_add_u64 v[64:65], v[56:57], 4, v[58:59]
	v_mul_f64 v[60:61], v[60:61], s[0:1]
	s_waitcnt lgkmcnt(0)
	v_mul_f64 v[56:57], v[38:39], v[30:31]
	v_fmac_f64_e32 v[56:57], v[36:37], v[28:29]
	v_mul_f64 v[28:29], v[38:39], v[28:29]
	v_fma_f64 v[28:29], v[36:37], v[30:31], -v[28:29]
	v_mul_f64 v[58:59], v[28:29], s[0:1]
	ds_read_b128 v[28:31], v196 offset:3136
	global_store_dwordx4 v[64:65], v[60:63], off
	v_mul_f64 v[56:57], v[56:57], s[0:1]
	s_waitcnt lgkmcnt(0)
	v_mul_f64 v[36:37], v[34:35], v[30:31]
	v_fmac_f64_e32 v[36:37], v[32:33], v[28:29]
	v_mul_f64 v[28:29], v[34:35], v[28:29]
	v_fma_f64 v[28:29], v[32:33], v[30:31], -v[28:29]
	v_mul_f64 v[38:39], v[28:29], s[0:1]
	ds_read_b128 v[28:31], v196 offset:4704
	v_mad_u64_u32 v[60:61], s[2:3], s4, v197, v[64:65]
	s_mul_i32 s2, s5, 0x620
	s_nop 0
	v_add_u32_e32 v61, s2, v61
	s_waitcnt lgkmcnt(0)
	v_mul_f64 v[32:33], v[46:47], v[30:31]
	v_fmac_f64_e32 v[32:33], v[44:45], v[28:29]
	v_mul_f64 v[28:29], v[46:47], v[28:29]
	v_fma_f64 v[28:29], v[44:45], v[30:31], -v[28:29]
	v_mul_f64 v[34:35], v[28:29], s[0:1]
	ds_read_b128 v[28:31], v196 offset:6272
	global_store_dwordx4 v[60:61], v[56:59], off
	v_mul_f64 v[36:37], v[36:37], s[0:1]
	v_mul_f64 v[32:33], v[32:33], s[0:1]
	v_mad_u64_u32 v[56:57], s[6:7], s4, v197, v[60:61]
	v_add_u32_e32 v57, s2, v57
	global_store_dwordx4 v[56:57], v[36:39], off
	s_mul_i32 s3, s5, 0xffffde50
	s_sub_i32 s3, s3, s4
	v_mad_u64_u32 v[36:37], s[6:7], s4, v197, v[56:57]
	v_add_u32_e32 v37, s2, v37
	global_store_dwordx4 v[36:37], v[32:35], off
	v_mad_u64_u32 v[44:45], s[6:7], s4, v197, v[36:37]
	s_waitcnt lgkmcnt(0)
	v_mul_f64 v[32:33], v[50:51], v[30:31]
	v_fmac_f64_e32 v[32:33], v[48:49], v[28:29]
	v_mul_f64 v[28:29], v[50:51], v[28:29]
	v_fma_f64 v[28:29], v[48:49], v[30:31], -v[28:29]
	v_mul_f64 v[34:35], v[28:29], s[0:1]
	ds_read_b128 v[28:31], v196 offset:7840
	v_mul_f64 v[32:33], v[32:33], s[0:1]
	v_add_u32_e32 v45, s2, v45
	global_store_dwordx4 v[44:45], v[32:35], off
	s_waitcnt lgkmcnt(0)
	s_nop 0
	v_mul_f64 v[32:33], v[42:43], v[30:31]
	v_fmac_f64_e32 v[32:33], v[40:41], v[28:29]
	v_mul_f64 v[28:29], v[42:43], v[28:29]
	v_fma_f64 v[28:29], v[40:41], v[30:31], -v[28:29]
	ds_read_b128 v[38:41], v196 offset:9408
	v_mul_f64 v[34:35], v[32:33], s[0:1]
	v_mad_u64_u32 v[32:33], s[6:7], s4, v197, v[44:45]
	v_mul_f64 v[36:37], v[28:29], s[0:1]
	v_add_u32_e32 v33, s2, v33
	global_store_dwordx4 v[32:33], v[34:37], off
	ds_read_b128 v[34:37], v196 offset:784
	s_waitcnt lgkmcnt(1)
	v_mul_f64 v[28:29], v[54:55], v[40:41]
	v_mul_f64 v[30:31], v[54:55], v[38:39]
	v_fmac_f64_e32 v[28:29], v[52:53], v[38:39]
	v_fma_f64 v[30:31], v[52:53], v[40:41], -v[30:31]
	v_mad_u64_u32 v[32:33], s[6:7], s4, v197, v[32:33]
	v_mul_f64 v[28:29], v[28:29], s[0:1]
	v_mul_f64 v[30:31], v[30:31], s[0:1]
	v_add_u32_e32 v33, s2, v33
	global_store_dwordx4 v[32:33], v[28:31], off
	v_mad_u64_u32 v[32:33], s[6:7], s4, v203, v[32:33]
	s_waitcnt lgkmcnt(0)
	v_mul_f64 v[28:29], v[26:27], v[36:37]
	v_mul_f64 v[26:27], v[26:27], v[34:35]
	v_fmac_f64_e32 v[28:29], v[24:25], v[34:35]
	v_fma_f64 v[24:25], v[24:25], v[36:37], -v[26:27]
	v_mul_f64 v[30:31], v[24:25], s[0:1]
	ds_read_b128 v[24:27], v196 offset:2352
	v_mul_f64 v[28:29], v[28:29], s[0:1]
	v_add_u32_e32 v33, s3, v33
	global_store_dwordx4 v[32:33], v[28:31], off
	v_mad_u64_u32 v[32:33], s[6:7], s4, v197, v[32:33]
	s_waitcnt lgkmcnt(0)
	v_mul_f64 v[28:29], v[18:19], v[26:27]
	v_mul_f64 v[18:19], v[18:19], v[24:25]
	v_fmac_f64_e32 v[28:29], v[16:17], v[24:25]
	v_fma_f64 v[16:17], v[16:17], v[26:27], -v[18:19]
	v_mul_f64 v[30:31], v[16:17], s[0:1]
	ds_read_b128 v[16:19], v196 offset:3920
	v_mul_f64 v[28:29], v[28:29], s[0:1]
	v_add_u32_e32 v33, s2, v33
	global_store_dwordx4 v[32:33], v[28:31], off
	s_waitcnt lgkmcnt(0)
	v_mul_f64 v[24:25], v[22:23], v[18:19]
	v_fmac_f64_e32 v[24:25], v[20:21], v[16:17]
	v_mul_f64 v[16:17], v[22:23], v[16:17]
	v_fma_f64 v[16:17], v[20:21], v[18:19], -v[16:17]
	v_mul_f64 v[26:27], v[16:17], s[0:1]
	ds_read_b128 v[16:19], v196 offset:5488
	v_mad_u64_u32 v[28:29], s[6:7], s4, v197, v[32:33]
	v_mul_f64 v[24:25], v[24:25], s[0:1]
	v_add_u32_e32 v29, s2, v29
	s_waitcnt lgkmcnt(0)
	v_mul_f64 v[20:21], v[14:15], v[18:19]
	v_mul_f64 v[14:15], v[14:15], v[16:17]
	v_fmac_f64_e32 v[20:21], v[12:13], v[16:17]
	v_fma_f64 v[12:13], v[12:13], v[18:19], -v[14:15]
	v_mul_f64 v[22:23], v[12:13], s[0:1]
	ds_read_b128 v[12:15], v196 offset:7056
	global_store_dwordx4 v[28:29], v[24:27], off
	v_mul_f64 v[20:21], v[20:21], s[0:1]
	s_waitcnt lgkmcnt(0)
	v_mul_f64 v[16:17], v[10:11], v[14:15]
	v_mul_f64 v[10:11], v[10:11], v[12:13]
	v_fmac_f64_e32 v[16:17], v[8:9], v[12:13]
	v_fma_f64 v[8:9], v[8:9], v[14:15], -v[10:11]
	v_mul_f64 v[18:19], v[8:9], s[0:1]
	ds_read_b128 v[8:11], v196 offset:8624
	v_mad_u64_u32 v[24:25], s[6:7], s4, v197, v[28:29]
	v_add_u32_e32 v25, s2, v25
	global_store_dwordx4 v[24:25], v[20:23], off
	s_waitcnt lgkmcnt(0)
	v_mul_f64 v[12:13], v[6:7], v[10:11]
	v_mul_f64 v[6:7], v[6:7], v[8:9]
	v_fmac_f64_e32 v[12:13], v[4:5], v[8:9]
	v_fma_f64 v[4:5], v[4:5], v[10:11], -v[6:7]
	v_mul_f64 v[14:15], v[4:5], s[0:1]
	ds_read_b128 v[4:7], v196 offset:10192
	v_mad_u64_u32 v[20:21], s[6:7], s4, v197, v[24:25]
	v_mul_f64 v[16:17], v[16:17], s[0:1]
	v_add_u32_e32 v21, s2, v21
	global_store_dwordx4 v[20:21], v[16:19], off
	s_waitcnt lgkmcnt(0)
	v_mul_f64 v[8:9], v[2:3], v[6:7]
	v_mul_f64 v[2:3], v[2:3], v[4:5]
	v_mad_u64_u32 v[16:17], s[6:7], s4, v197, v[20:21]
	v_add_u32_e32 v17, s2, v17
	v_fmac_f64_e32 v[8:9], v[0:1], v[4:5]
	v_fma_f64 v[0:1], v[0:1], v[6:7], -v[2:3]
	v_mul_f64 v[12:13], v[12:13], s[0:1]
	v_mul_f64 v[8:9], v[8:9], s[0:1]
	;; [unrolled: 1-line block ×3, first 2 shown]
	v_mad_u64_u32 v[0:1], s[0:1], s4, v197, v[16:17]
	v_add_u32_e32 v1, s2, v1
	global_store_dwordx4 v[16:17], v[12:15], off
	global_store_dwordx4 v[0:1], v[8:11], off
.LBB0_2:
	s_endpgm
	.section	.rodata,"a",@progbits
	.p2align	6, 0x0
	.amdhsa_kernel bluestein_single_fwd_len686_dim1_dp_op_CI_CI
		.amdhsa_group_segment_fixed_size 10976
		.amdhsa_private_segment_fixed_size 0
		.amdhsa_kernarg_size 104
		.amdhsa_user_sgpr_count 2
		.amdhsa_user_sgpr_dispatch_ptr 0
		.amdhsa_user_sgpr_queue_ptr 0
		.amdhsa_user_sgpr_kernarg_segment_ptr 1
		.amdhsa_user_sgpr_dispatch_id 0
		.amdhsa_user_sgpr_kernarg_preload_length 0
		.amdhsa_user_sgpr_kernarg_preload_offset 0
		.amdhsa_user_sgpr_private_segment_size 0
		.amdhsa_uses_dynamic_stack 0
		.amdhsa_enable_private_segment 0
		.amdhsa_system_sgpr_workgroup_id_x 1
		.amdhsa_system_sgpr_workgroup_id_y 0
		.amdhsa_system_sgpr_workgroup_id_z 0
		.amdhsa_system_sgpr_workgroup_info 0
		.amdhsa_system_vgpr_workitem_id 0
		.amdhsa_next_free_vgpr 246
		.amdhsa_next_free_sgpr 31
		.amdhsa_accum_offset 248
		.amdhsa_reserve_vcc 1
		.amdhsa_float_round_mode_32 0
		.amdhsa_float_round_mode_16_64 0
		.amdhsa_float_denorm_mode_32 3
		.amdhsa_float_denorm_mode_16_64 3
		.amdhsa_dx10_clamp 1
		.amdhsa_ieee_mode 1
		.amdhsa_fp16_overflow 0
		.amdhsa_tg_split 0
		.amdhsa_exception_fp_ieee_invalid_op 0
		.amdhsa_exception_fp_denorm_src 0
		.amdhsa_exception_fp_ieee_div_zero 0
		.amdhsa_exception_fp_ieee_overflow 0
		.amdhsa_exception_fp_ieee_underflow 0
		.amdhsa_exception_fp_ieee_inexact 0
		.amdhsa_exception_int_div_zero 0
	.end_amdhsa_kernel
	.text
.Lfunc_end0:
	.size	bluestein_single_fwd_len686_dim1_dp_op_CI_CI, .Lfunc_end0-bluestein_single_fwd_len686_dim1_dp_op_CI_CI
                                        ; -- End function
	.section	.AMDGPU.csdata,"",@progbits
; Kernel info:
; codeLenInByte = 15332
; NumSgprs: 37
; NumVgprs: 246
; NumAgprs: 0
; TotalNumVgprs: 246
; ScratchSize: 0
; MemoryBound: 0
; FloatMode: 240
; IeeeMode: 1
; LDSByteSize: 10976 bytes/workgroup (compile time only)
; SGPRBlocks: 4
; VGPRBlocks: 30
; NumSGPRsForWavesPerEU: 37
; NumVGPRsForWavesPerEU: 246
; AccumOffset: 248
; Occupancy: 2
; WaveLimiterHint : 1
; COMPUTE_PGM_RSRC2:SCRATCH_EN: 0
; COMPUTE_PGM_RSRC2:USER_SGPR: 2
; COMPUTE_PGM_RSRC2:TRAP_HANDLER: 0
; COMPUTE_PGM_RSRC2:TGID_X_EN: 1
; COMPUTE_PGM_RSRC2:TGID_Y_EN: 0
; COMPUTE_PGM_RSRC2:TGID_Z_EN: 0
; COMPUTE_PGM_RSRC2:TIDIG_COMP_CNT: 0
; COMPUTE_PGM_RSRC3_GFX90A:ACCUM_OFFSET: 61
; COMPUTE_PGM_RSRC3_GFX90A:TG_SPLIT: 0
	.text
	.p2alignl 6, 3212836864
	.fill 256, 4, 3212836864
	.type	__hip_cuid_cbc7ae95e8ff6074,@object ; @__hip_cuid_cbc7ae95e8ff6074
	.section	.bss,"aw",@nobits
	.globl	__hip_cuid_cbc7ae95e8ff6074
__hip_cuid_cbc7ae95e8ff6074:
	.byte	0                               ; 0x0
	.size	__hip_cuid_cbc7ae95e8ff6074, 1

	.ident	"AMD clang version 19.0.0git (https://github.com/RadeonOpenCompute/llvm-project roc-6.4.0 25133 c7fe45cf4b819c5991fe208aaa96edf142730f1d)"
	.section	".note.GNU-stack","",@progbits
	.addrsig
	.addrsig_sym __hip_cuid_cbc7ae95e8ff6074
	.amdgpu_metadata
---
amdhsa.kernels:
  - .agpr_count:     0
    .args:
      - .actual_access:  read_only
        .address_space:  global
        .offset:         0
        .size:           8
        .value_kind:     global_buffer
      - .actual_access:  read_only
        .address_space:  global
        .offset:         8
        .size:           8
        .value_kind:     global_buffer
      - .actual_access:  read_only
        .address_space:  global
        .offset:         16
        .size:           8
        .value_kind:     global_buffer
      - .actual_access:  read_only
        .address_space:  global
        .offset:         24
        .size:           8
        .value_kind:     global_buffer
      - .actual_access:  read_only
        .address_space:  global
        .offset:         32
        .size:           8
        .value_kind:     global_buffer
      - .offset:         40
        .size:           8
        .value_kind:     by_value
      - .address_space:  global
        .offset:         48
        .size:           8
        .value_kind:     global_buffer
      - .address_space:  global
        .offset:         56
        .size:           8
        .value_kind:     global_buffer
      - .address_space:  global
        .offset:         64
        .size:           8
        .value_kind:     global_buffer
      - .address_space:  global
        .offset:         72
        .size:           8
        .value_kind:     global_buffer
      - .offset:         80
        .size:           4
        .value_kind:     by_value
      - .address_space:  global
        .offset:         88
        .size:           8
        .value_kind:     global_buffer
      - .address_space:  global
        .offset:         96
        .size:           8
        .value_kind:     global_buffer
    .group_segment_fixed_size: 10976
    .kernarg_segment_align: 8
    .kernarg_segment_size: 104
    .language:       OpenCL C
    .language_version:
      - 2
      - 0
    .max_flat_workgroup_size: 49
    .name:           bluestein_single_fwd_len686_dim1_dp_op_CI_CI
    .private_segment_fixed_size: 0
    .sgpr_count:     37
    .sgpr_spill_count: 0
    .symbol:         bluestein_single_fwd_len686_dim1_dp_op_CI_CI.kd
    .uniform_work_group_size: 1
    .uses_dynamic_stack: false
    .vgpr_count:     246
    .vgpr_spill_count: 0
    .wavefront_size: 64
amdhsa.target:   amdgcn-amd-amdhsa--gfx950
amdhsa.version:
  - 1
  - 2
...

	.end_amdgpu_metadata
